;; amdgpu-corpus repo=ROCm/rocFFT kind=compiled arch=gfx1201 opt=O3
	.text
	.amdgcn_target "amdgcn-amd-amdhsa--gfx1201"
	.amdhsa_code_object_version 6
	.protected	bluestein_single_fwd_len918_dim1_sp_op_CI_CI ; -- Begin function bluestein_single_fwd_len918_dim1_sp_op_CI_CI
	.globl	bluestein_single_fwd_len918_dim1_sp_op_CI_CI
	.p2align	8
	.type	bluestein_single_fwd_len918_dim1_sp_op_CI_CI,@function
bluestein_single_fwd_len918_dim1_sp_op_CI_CI: ; @bluestein_single_fwd_len918_dim1_sp_op_CI_CI
; %bb.0:
	s_load_b128 s[8:11], s[0:1], 0x28
	v_mul_u32_u24_e32 v1, 0x283, v0
	s_mov_b32 s2, exec_lo
	v_mov_b32_e32 v63, 0
	s_delay_alu instid0(VALU_DEP_2) | instskip(NEXT) | instid1(VALU_DEP_1)
	v_lshrrev_b32_e32 v1, 16, v1
	v_add_nc_u32_e32 v62, ttmp9, v1
	s_wait_kmcnt 0x0
	s_delay_alu instid0(VALU_DEP_1)
	v_cmpx_gt_u64_e64 s[8:9], v[62:63]
	s_cbranch_execz .LBB0_23
; %bb.1:
	s_clause 0x1
	s_load_b64 s[8:9], s[0:1], 0x0
	s_load_b64 s[12:13], s[0:1], 0x38
	v_mul_lo_u16 v1, 0x66, v1
	s_delay_alu instid0(VALU_DEP_1) | instskip(NEXT) | instid1(VALU_DEP_1)
	v_sub_nc_u16 v0, v0, v1
	v_and_b32_e32 v90, 0xffff, v0
	v_cmp_gt_u16_e32 vcc_lo, 54, v0
	s_delay_alu instid0(VALU_DEP_2)
	v_lshlrev_b32_e32 v89, 3, v90
	s_and_saveexec_b32 s3, vcc_lo
	s_cbranch_execz .LBB0_3
; %bb.2:
	s_load_b64 s[4:5], s[0:1], 0x18
	s_delay_alu instid0(VALU_DEP_1)
	v_add_nc_u32_e32 v72, 0x800, v89
	s_wait_kmcnt 0x0
	s_load_b128 s[4:7], s[4:5], 0x0
	s_wait_kmcnt 0x0
	v_mad_co_u64_u32 v[0:1], null, s6, v62, 0
	v_mad_co_u64_u32 v[2:3], null, s4, v90, 0
	s_delay_alu instid0(VALU_DEP_1) | instskip(NEXT) | instid1(VALU_DEP_1)
	v_mad_co_u64_u32 v[4:5], null, s7, v62, v[1:2]
	v_mad_co_u64_u32 v[5:6], null, s5, v90, v[3:4]
	v_mov_b32_e32 v1, v4
	s_mul_u64 s[4:5], s[4:5], 0x1b0
	s_delay_alu instid0(VALU_DEP_1) | instskip(NEXT) | instid1(VALU_DEP_3)
	v_lshlrev_b64_e32 v[0:1], 3, v[0:1]
	v_mov_b32_e32 v3, v5
	s_delay_alu instid0(VALU_DEP_2) | instskip(NEXT) | instid1(VALU_DEP_2)
	v_add_co_u32 v10, s2, s10, v0
	v_lshlrev_b64_e32 v[2:3], 3, v[2:3]
	s_delay_alu instid0(VALU_DEP_4)
	v_add_co_ci_u32_e64 v11, s2, s11, v1, s2
	s_clause 0xb
	global_load_b64 v[0:1], v89, s[8:9]
	global_load_b64 v[4:5], v89, s[8:9] offset:432
	global_load_b64 v[6:7], v89, s[8:9] offset:864
	;; [unrolled: 1-line block ×11, first 2 shown]
	v_add_co_u32 v2, s2, v10, v2
	s_wait_alu 0xf1ff
	v_add_co_ci_u32_e64 v3, s2, v11, v3, s2
	s_clause 0x2
	global_load_b64 v[32:33], v89, s[8:9] offset:5184
	global_load_b64 v[34:35], v89, s[8:9] offset:5616
	;; [unrolled: 1-line block ×3, first 2 shown]
	s_wait_alu 0xfffe
	v_add_co_u32 v10, s2, v2, s4
	s_wait_alu 0xf1ff
	v_add_co_ci_u32_e64 v11, s2, s5, v3, s2
	s_delay_alu instid0(VALU_DEP_2) | instskip(SKIP_1) | instid1(VALU_DEP_2)
	v_add_co_u32 v20, s2, v10, s4
	s_wait_alu 0xf1ff
	v_add_co_ci_u32_e64 v21, s2, s5, v11, s2
	s_delay_alu instid0(VALU_DEP_2) | instskip(SKIP_1) | instid1(VALU_DEP_2)
	;; [unrolled: 4-line block ×3, first 2 shown]
	v_add_co_u32 v38, s2, v30, s4
	s_wait_alu 0xf1ff
	v_add_co_ci_u32_e64 v39, s2, s5, v31, s2
	s_clause 0x3
	global_load_b64 v[2:3], v[2:3], off
	global_load_b64 v[10:11], v[10:11], off
	;; [unrolled: 1-line block ×4, first 2 shown]
	v_add_co_u32 v40, s2, v38, s4
	s_wait_alu 0xf1ff
	v_add_co_ci_u32_e64 v41, s2, s5, v39, s2
	global_load_b64 v[38:39], v[38:39], off
	v_add_co_u32 v42, s2, v40, s4
	s_wait_alu 0xf1ff
	v_add_co_ci_u32_e64 v43, s2, s5, v41, s2
	global_load_b64 v[40:41], v[40:41], off
	;; [unrolled: 4-line block ×11, first 2 shown]
	v_add_co_u32 v63, s2, v60, s4
	s_wait_alu 0xf1ff
	v_add_co_ci_u32_e64 v64, s2, s5, v61, s2
	global_load_b64 v[65:66], v89, s[8:9] offset:6480
	global_load_b64 v[60:61], v[60:61], off
	global_load_b64 v[67:68], v89, s[8:9] offset:6912
	global_load_b64 v[63:64], v[63:64], off
	v_add_nc_u32_e32 v71, 0x400, v89
	s_wait_loadcnt 0x12
	v_mul_f32_e32 v69, v3, v1
	v_mul_f32_e32 v70, v2, v1
	s_wait_loadcnt 0x11
	v_mul_f32_e32 v1, v11, v5
	s_delay_alu instid0(VALU_DEP_3) | instskip(NEXT) | instid1(VALU_DEP_3)
	v_dual_fmac_f32 v69, v2, v0 :: v_dual_add_nc_u32 v74, 0x1400, v89
	v_fma_f32 v70, v3, v0, -v70
	s_wait_loadcnt 0x10
	v_dual_mul_f32 v0, v10, v5 :: v_dual_mul_f32 v3, v21, v7
	v_mul_f32_e32 v7, v20, v7
	s_wait_loadcnt 0xf
	v_mul_f32_e32 v5, v31, v9
	v_mul_f32_e32 v9, v30, v9
	v_fmac_f32_e32 v1, v10, v4
	v_fma_f32 v2, v11, v4, -v0
	s_wait_loadcnt 0xe
	v_dual_mul_f32 v0, v39, v13 :: v_dual_fmac_f32 v3, v20, v6
	v_fma_f32 v4, v21, v6, -v7
	v_fmac_f32_e32 v5, v30, v8
	v_fma_f32 v6, v31, v8, -v9
	v_mul_f32_e32 v7, v38, v13
	ds_store_2addr_b64 v89, v[69:70], v[1:2] offset1:54
	s_wait_loadcnt 0xd
	v_dual_mul_f32 v2, v41, v15 :: v_dual_add_nc_u32 v73, 0x1000, v89
	v_fmac_f32_e32 v0, v38, v12
	v_fma_f32 v1, v39, v12, -v7
	s_wait_loadcnt 0xb
	v_mul_f32_e32 v7, v44, v19
	v_fmac_f32_e32 v2, v40, v14
	s_wait_loadcnt 0xa
	v_mul_f32_e32 v8, v47, v23
	ds_store_2addr_b64 v89, v[3:4], v[5:6] offset0:108 offset1:162
	v_dual_mul_f32 v3, v40, v15 :: v_dual_mul_f32 v4, v43, v17
	v_dual_mul_f32 v5, v42, v17 :: v_dual_mul_f32 v6, v45, v19
	v_fmac_f32_e32 v8, v46, v22
	s_delay_alu instid0(VALU_DEP_3) | instskip(NEXT) | instid1(VALU_DEP_4)
	v_fma_f32 v3, v41, v14, -v3
	v_fmac_f32_e32 v4, v42, v16
	v_fma_f32 v7, v45, v18, -v7
	v_fmac_f32_e32 v6, v44, v18
	ds_store_2addr_b64 v71, v[0:1], v[2:3] offset0:88 offset1:142
	s_wait_loadcnt 0x8
	v_mul_f32_e32 v2, v51, v27
	v_fma_f32 v5, v43, v16, -v5
	v_mul_f32_e32 v0, v49, v25
	v_mul_f32_e32 v1, v48, v25
	;; [unrolled: 1-line block ×3, first 2 shown]
	v_fmac_f32_e32 v2, v50, v26
	ds_store_2addr_b64 v72, v[4:5], v[6:7] offset0:68 offset1:122
	s_wait_loadcnt 0x6
	v_mul_f32_e32 v6, v55, v33
	v_dual_mul_f32 v4, v53, v29 :: v_dual_mul_f32 v9, v46, v23
	v_mul_f32_e32 v5, v52, v29
	v_fmac_f32_e32 v0, v48, v24
	s_wait_loadcnt 0x5
	v_dual_mul_f32 v10, v57, v35 :: v_dual_mul_f32 v7, v54, v33
	v_dual_mul_f32 v11, v56, v35 :: v_dual_fmac_f32 v6, v54, v32
	v_fma_f32 v1, v49, v24, -v1
	s_wait_loadcnt 0x4
	v_mul_f32_e32 v12, v59, v37
	v_dual_mul_f32 v13, v58, v37 :: v_dual_fmac_f32 v4, v52, v28
	s_wait_loadcnt 0x2
	v_mul_f32_e32 v14, v61, v66
	v_mul_f32_e32 v15, v60, v66
	s_wait_loadcnt 0x0
	v_mul_f32_e32 v16, v64, v68
	v_mul_f32_e32 v17, v63, v68
	v_fma_f32 v9, v47, v22, -v9
	v_fmac_f32_e32 v14, v60, v65
	v_fma_f32 v3, v51, v26, -v3
	v_fma_f32 v5, v53, v28, -v5
	v_fmac_f32_e32 v10, v56, v34
	v_fma_f32 v7, v55, v32, -v7
	;; [unrolled: 3-line block ×4, first 2 shown]
	ds_store_2addr_b64 v72, v[8:9], v[0:1] offset0:176 offset1:230
	ds_store_2addr_b64 v73, v[2:3], v[4:5] offset0:28 offset1:82
	;; [unrolled: 1-line block ×4, first 2 shown]
	ds_store_b64 v89, v[16:17] offset:6912
.LBB0_3:
	s_or_b32 exec_lo, exec_lo, s3
	s_clause 0x1
	s_load_b64 s[4:5], s[0:1], 0x20
	s_load_b64 s[2:3], s[0:1], 0x8
	v_mov_b32_e32 v12, 0
	v_mov_b32_e32 v13, 0
	global_wb scope:SCOPE_SE
	s_wait_dscnt 0x0
	s_wait_kmcnt 0x0
	s_barrier_signal -1
	s_barrier_wait -1
	global_inv scope:SCOPE_SE
                                        ; implicit-def: $vgpr30
                                        ; implicit-def: $vgpr24
                                        ; implicit-def: $vgpr20
                                        ; implicit-def: $vgpr16
                                        ; implicit-def: $vgpr44
                                        ; implicit-def: $vgpr42
                                        ; implicit-def: $vgpr38
                                        ; implicit-def: $vgpr34
	s_and_saveexec_b32 s0, vcc_lo
	s_cbranch_execz .LBB0_5
; %bb.4:
	v_add_nc_u32_e32 v0, 0x400, v89
	v_add_nc_u32_e32 v1, 0x800, v89
	;; [unrolled: 1-line block ×3, first 2 shown]
	ds_load_2addr_b64 v[12:15], v89 offset1:54
	ds_load_2addr_b64 v[32:35], v89 offset0:108 offset1:162
	ds_load_2addr_b64 v[36:39], v0 offset0:88 offset1:142
	v_add_nc_u32_e32 v0, 0x1400, v89
	ds_load_2addr_b64 v[40:43], v1 offset0:68 offset1:122
	ds_load_2addr_b64 v[28:31], v1 offset0:176 offset1:230
	;; [unrolled: 1-line block ×5, first 2 shown]
	ds_load_b64 v[44:45], v89 offset:6912
.LBB0_5:
	s_wait_alu 0xfffe
	s_or_b32 exec_lo, exec_lo, s0
	s_wait_dscnt 0x0
	v_dual_sub_f32 v9, v15, v45 :: v_dual_sub_f32 v8, v14, v44
	v_dual_add_f32 v82, v44, v14 :: v_dual_add_f32 v83, v45, v15
	v_dual_add_f32 v73, v18, v32 :: v_dual_sub_f32 v46, v33, v19
	s_delay_alu instid0(VALU_DEP_3) | instskip(SKIP_2) | instid1(VALU_DEP_3)
	v_dual_mul_f32 v48, 0xbeb8f4ab, v9 :: v_dual_mul_f32 v49, 0xbeb8f4ab, v8
	v_dual_sub_f32 v11, v32, v18 :: v_dual_add_f32 v80, v17, v35
	v_add_f32_e32 v93, v22, v36
	v_fmamk_f32 v0, v82, 0x3f6eb680, v48
	s_delay_alu instid0(VALU_DEP_4) | instskip(SKIP_3) | instid1(VALU_DEP_4)
	v_fma_f32 v1, 0x3f6eb680, v83, -v49
	v_mul_f32_e32 v50, 0xbf2c7751, v46
	v_dual_add_f32 v74, v19, v33 :: v_dual_mul_f32 v51, 0xbf2c7751, v11
	v_sub_f32_e32 v47, v34, v16
	v_add_f32_e32 v1, v1, v13
	s_delay_alu instid0(VALU_DEP_4) | instskip(SKIP_4) | instid1(VALU_DEP_3)
	v_fmamk_f32 v2, v73, 0x3f3d2fb0, v50
	v_dual_add_f32 v0, v0, v12 :: v_dual_sub_f32 v91, v35, v17
	v_fma_f32 v3, 0x3f3d2fb0, v74, -v51
	v_dual_add_f32 v78, v16, v34 :: v_dual_mul_f32 v53, 0xbf65296c, v47
	v_dual_sub_f32 v134, v36, v22 :: v_dual_sub_f32 v145, v38, v20
	v_dual_mul_f32 v52, 0xbf65296c, v91 :: v_dual_add_f32 v1, v3, v1
	v_dual_add_f32 v0, v2, v0 :: v_dual_sub_f32 v135, v37, v23
	s_delay_alu instid0(VALU_DEP_4) | instskip(NEXT) | instid1(VALU_DEP_4)
	v_fma_f32 v3, 0x3ee437d1, v80, -v53
	v_dual_add_f32 v92, v23, v37 :: v_dual_mul_f32 v55, 0xbf7ee86f, v134
	s_delay_alu instid0(VALU_DEP_4) | instskip(SKIP_1) | instid1(VALU_DEP_4)
	v_fmamk_f32 v2, v78, 0x3ee437d1, v52
	v_dual_sub_f32 v146, v39, v21 :: v_dual_sub_f32 v155, v41, v27
	v_add_f32_e32 v1, v3, v1
	s_delay_alu instid0(VALU_DEP_4) | instskip(SKIP_3) | instid1(VALU_DEP_3)
	v_fma_f32 v3, 0x3dbcf732, v92, -v55
	v_mul_f32_e32 v54, 0xbf7ee86f, v135
	v_dual_add_f32 v0, v2, v0 :: v_dual_add_f32 v95, v21, v39
	v_dual_add_f32 v94, v20, v38 :: v_dual_mul_f32 v59, 0xbf763a35, v145
	v_dual_add_f32 v1, v3, v1 :: v_dual_fmamk_f32 v2, v93, 0x3dbcf732, v54
	v_dual_add_f32 v97, v27, v41 :: v_dual_sub_f32 v154, v40, v26
	v_sub_f32_e32 v157, v42, v24
	s_delay_alu instid0(VALU_DEP_4) | instskip(SKIP_1) | instid1(VALU_DEP_4)
	v_fma_f32 v3, 0xbe8c1d8e, v95, -v59
	v_mul_f32_e32 v58, 0xbf763a35, v146
	v_dual_add_f32 v0, v2, v0 :: v_dual_mul_f32 v61, 0xbf4c4adb, v154
	v_dual_sub_f32 v158, v43, v25 :: v_dual_add_f32 v107, v30, v28
	s_delay_alu instid0(VALU_DEP_4) | instskip(NEXT) | instid1(VALU_DEP_4)
	v_dual_add_f32 v96, v26, v40 :: v_dual_add_f32 v1, v3, v1
	v_dual_fmamk_f32 v2, v94, 0xbe8c1d8e, v58 :: v_dual_add_f32 v99, v25, v43
	s_delay_alu instid0(VALU_DEP_4) | instskip(SKIP_2) | instid1(VALU_DEP_4)
	v_fma_f32 v3, 0xbf1a4643, v97, -v61
	v_mul_f32_e32 v60, 0xbf4c4adb, v155
	v_mul_f32_e32 v66, 0xbf06c442, v157
	v_dual_add_f32 v0, v2, v0 :: v_dual_sub_f32 v167, v29, v31
	v_add_f32_e32 v98, v24, v42
	v_mul_f32_e32 v65, 0xbf06c442, v158
	v_add_f32_e32 v1, v3, v1
	v_fma_f32 v3, 0xbf59a7d5, v99, -v66
	v_mul_f32_e32 v67, 0xbe3c28d5, v167
	v_fmamk_f32 v2, v96, 0xbf1a4643, v60
	v_dual_mul_f32 v56, 0xbf2c7751, v9 :: v_dual_mul_f32 v57, 0xbf2c7751, v8
	s_delay_alu instid0(VALU_DEP_4) | instskip(NEXT) | instid1(VALU_DEP_3)
	v_dual_add_f32 v1, v3, v1 :: v_dual_mul_f32 v102, 0xbf4c4adb, v46
	v_dual_add_f32 v0, v2, v0 :: v_dual_mul_f32 v77, 0xbf4c4adb, v91
	v_fmamk_f32 v2, v98, 0xbf59a7d5, v65
	s_delay_alu instid0(VALU_DEP_4)
	v_fma_f32 v5, 0x3f3d2fb0, v83, -v57
	v_mul_f32_e32 v86, 0xbf7ee86f, v11
	v_fmamk_f32 v6, v73, 0xbf1a4643, v102
	v_mul_f32_e32 v84, 0xbf4c4adb, v47
	v_dual_add_f32 v0, v2, v0 :: v_dual_mul_f32 v81, 0x3f06c442, v146
	v_fmamk_f32 v2, v107, 0xbf7ba420, v67
	v_dual_sub_f32 v166, v28, v30 :: v_dual_mul_f32 v79, 0xbe3c28d5, v135
	v_dual_add_f32 v108, v31, v29 :: v_dual_mul_f32 v85, 0xbe3c28d5, v134
	s_delay_alu instid0(VALU_DEP_3)
	v_dual_add_f32 v63, v2, v0 :: v_dual_add_f32 v2, v5, v13
	v_mul_f32_e32 v71, 0x3eb8f4ab, v167
	v_fma_f32 v5, 0x3dbcf732, v74, -v86
	v_mul_f32_e32 v68, 0xbe3c28d5, v166
	v_mul_f32_e32 v87, 0x3f06c442, v145
	v_mul_f32_e32 v88, 0x3f763a35, v154
	s_delay_alu instid0(VALU_DEP_4)
	v_dual_mul_f32 v113, 0xbf65296c, v8 :: v_dual_add_f32 v2, v5, v2
	v_fma_f32 v5, 0xbf1a4643, v80, -v84
	v_fma_f32 v3, 0xbf7ba420, v108, -v68
	v_mul_f32_e32 v138, 0x3f06c442, v46
	v_mul_f32_e32 v101, 0x3f2c7751, v146
	v_dual_mul_f32 v100, 0xbf65296c, v9 :: v_dual_mul_f32 v121, 0xbf65296c, v146
	v_add_f32_e32 v2, v5, v2
	v_fma_f32 v5, 0xbf7ba420, v92, -v85
	v_dual_add_f32 v64, v3, v1 :: v_dual_fmamk_f32 v139, v73, 0xbf59a7d5, v138
	v_mul_f32_e32 v72, 0x3f65296c, v157
	s_delay_alu instid0(VALU_DEP_3)
	v_dual_mul_f32 v69, 0x3f763a35, v155 :: v_dual_add_f32 v2, v5, v2
	v_fma_f32 v5, 0xbf59a7d5, v95, -v87
	v_mul_f32_e32 v75, 0x3eb8f4ab, v166
	v_fmamk_f32 v3, v107, 0x3f6eb680, v71
	v_mul_f32_e32 v147, 0x3f7ee86f, v154
	v_mul_f32_e32 v70, 0x3f65296c, v158
	v_add_f32_e32 v2, v5, v2
	v_fma_f32 v5, 0xbe8c1d8e, v97, -v88
	v_fmamk_f32 v4, v82, 0x3f3d2fb0, v56
	v_mul_f32_e32 v109, 0x3e3c28d5, v91
	v_fma_f32 v156, 0x3dbcf732, v97, -v147
	s_delay_alu instid0(VALU_DEP_4) | instskip(SKIP_4) | instid1(VALU_DEP_4)
	v_dual_mul_f32 v106, 0x3f763a35, v135 :: v_dual_add_f32 v1, v5, v2
	v_fma_f32 v2, 0x3ee437d1, v99, -v72
	v_dual_add_f32 v4, v4, v12 :: v_dual_mul_f32 v115, 0x3e3c28d5, v47
	v_mul_f32_e32 v114, 0xbf4c4adb, v11
	v_mul_f32_e32 v103, 0xbeb8f4ab, v155
	v_add_f32_e32 v1, v2, v1
	v_fmamk_f32 v2, v82, 0x3ee437d1, v100
	v_mul_f32_e32 v76, 0xbf7ee86f, v46
	v_dual_mul_f32 v116, 0x3f763a35, v134 :: v_dual_mul_f32 v133, 0x3f763a35, v47
	v_mul_f32_e32 v117, 0x3f2c7751, v145
	s_delay_alu instid0(VALU_DEP_3)
	v_dual_add_f32 v5, v2, v12 :: v_dual_fmamk_f32 v0, v73, 0x3dbcf732, v76
	v_mul_f32_e32 v104, 0xbf7ee86f, v158
	v_mul_f32_e32 v112, 0xbf7ee86f, v157
	v_mul_f32_e32 v169, 0x3f763a35, v11
	v_mul_f32_e32 v130, 0xbf7ee86f, v8
	v_add_f32_e32 v0, v0, v4
	v_fmamk_f32 v4, v78, 0xbf1a4643, v77
	v_mul_f32_e32 v111, 0xbeb8f4ab, v154
	v_fma_f32 v162, 0xbe8c1d8e, v74, -v169
	v_mul_f32_e32 v120, 0xbf7ee86f, v9
	v_dual_mul_f32 v118, 0x3f763a35, v91 :: v_dual_mul_f32 v163, 0x3f763a35, v46
	v_add_f32_e32 v0, v4, v0
	v_fmamk_f32 v4, v93, 0xbf7ba420, v79
	v_mul_f32_e32 v105, 0xbf06c442, v167
	v_dual_mul_f32 v126, 0xbf65296c, v145 :: v_dual_mul_f32 v141, 0xbf65296c, v135
	v_dual_mul_f32 v124, 0xbf06c442, v155 :: v_dual_mul_f32 v127, 0xbf06c442, v154
	s_delay_alu instid0(VALU_DEP_4)
	v_add_f32_e32 v0, v4, v0
	v_fmamk_f32 v4, v94, 0xbf59a7d5, v81
	v_fmamk_f32 v7, v107, 0xbf59a7d5, v105
	v_mul_f32_e32 v123, 0xbe3c28d5, v46
	v_mul_f32_e32 v110, 0xbf06c442, v166
	;; [unrolled: 1-line block ×3, first 2 shown]
	v_add_f32_e32 v0, v4, v0
	v_fmamk_f32 v4, v96, 0xbe8c1d8e, v69
	v_mul_f32_e32 v131, 0xbe3c28d5, v11
	v_dual_mul_f32 v171, 0xbf06c442, v134 :: v_dual_mul_f32 v194, 0xbf06c442, v8
	s_delay_alu instid0(VALU_DEP_3) | instskip(SKIP_1) | instid1(VALU_DEP_4)
	v_dual_mul_f32 v195, 0x3f65296c, v11 :: v_dual_add_f32 v0, v4, v0
	v_fmamk_f32 v4, v98, 0x3ee437d1, v70
	v_fma_f32 v10, 0xbf7ba420, v74, -v131
	s_delay_alu instid0(VALU_DEP_4)
	v_fma_f32 v174, 0xbf59a7d5, v92, -v171
	v_mul_f32_e32 v128, 0x3f4c4adb, v157
	v_fma_f32 v183, 0xbf59a7d5, v83, -v194
	v_add_f32_e32 v0, v4, v0
	v_fma_f32 v4, 0x3f6eb680, v108, -v75
	v_mul_f32_e32 v119, 0x3eb8f4ab, v135
	s_delay_alu instid0(VALU_DEP_4) | instskip(NEXT) | instid1(VALU_DEP_4)
	v_dual_mul_f32 v152, 0xbf763a35, v8 :: v_dual_add_f32 v183, v183, v13
	v_add_f32_e32 v2, v3, v0
	v_fma_f32 v0, 0x3ee437d1, v83, -v113
	v_add_f32_e32 v3, v6, v5
	v_fmamk_f32 v5, v78, 0xbf7ba420, v109
	v_fma_f32 v6, 0xbf1a4643, v74, -v114
	v_fma_f32 v185, 0x3ee437d1, v74, -v195
	v_add_f32_e32 v0, v0, v13
	v_mul_f32_e32 v192, 0xbf7ee86f, v47
	v_add_f32_e32 v3, v5, v3
	v_fmamk_f32 v5, v93, 0xbe8c1d8e, v106
	v_dual_mul_f32 v142, 0xbe3c28d5, v146 :: v_dual_mul_f32 v149, 0xbe3c28d5, v145
	v_add_f32_e32 v0, v6, v0
	v_fma_f32 v6, 0xbf7ba420, v80, -v115
	s_delay_alu instid0(VALU_DEP_4) | instskip(SKIP_2) | instid1(VALU_DEP_4)
	v_add_f32_e32 v3, v5, v3
	v_fmamk_f32 v5, v94, 0x3f3d2fb0, v101
	v_dual_mul_f32 v132, 0x3f2c7751, v166 :: v_dual_mul_f32 v151, 0x3f2c7751, v47
	v_add_f32_e32 v0, v6, v0
	v_fma_f32 v6, 0xbe8c1d8e, v92, -v116
	s_delay_alu instid0(VALU_DEP_4)
	v_add_f32_e32 v3, v5, v3
	v_fmamk_f32 v5, v96, 0x3f6eb680, v103
	v_mul_f32_e32 v137, 0xbf763a35, v9
	v_fma_f32 v140, 0x3f3d2fb0, v80, -v151
	v_add_f32_e32 v0, v6, v0
	v_fma_f32 v6, 0x3f3d2fb0, v95, -v117
	v_add_f32_e32 v3, v5, v3
	v_fmamk_f32 v5, v98, 0x3dbcf732, v104
	v_mul_f32_e32 v125, 0x3f2c7751, v167
	s_delay_alu instid0(VALU_DEP_4) | instskip(SKIP_1) | instid1(VALU_DEP_4)
	v_dual_mul_f32 v143, 0x3f2c7751, v91 :: v_dual_add_f32 v0, v6, v0
	v_fma_f32 v6, 0x3f6eb680, v97, -v111
	v_add_f32_e32 v5, v5, v3
	v_add_f32_e32 v3, v4, v1
	v_fma_f32 v4, 0x3dbcf732, v99, -v112
	v_mul_f32_e32 v153, 0x3f06c442, v11
	s_delay_alu instid0(VALU_DEP_4) | instskip(SKIP_3) | instid1(VALU_DEP_4)
	v_dual_add_f32 v1, v6, v0 :: v_dual_add_f32 v0, v7, v5
	v_fmamk_f32 v7, v73, 0xbf7ba420, v123
	v_fma_f32 v6, 0x3dbcf732, v83, -v130
	v_fma_f32 v5, 0xbf59a7d5, v108, -v110
	v_dual_add_f32 v1, v4, v1 :: v_dual_fmamk_f32 v4, v82, 0x3dbcf732, v120
	v_mul_f32_e32 v178, 0xbf7ee86f, v91
	s_delay_alu instid0(VALU_DEP_4) | instskip(NEXT) | instid1(VALU_DEP_3)
	v_dual_add_f32 v6, v6, v13 :: v_dual_add_f32 v183, v185, v183
	v_dual_add_f32 v1, v5, v1 :: v_dual_add_f32 v4, v4, v12
	v_fma_f32 v185, 0x3dbcf732, v80, -v192
	s_delay_alu instid0(VALU_DEP_3)
	v_add_f32_e32 v6, v10, v6
	v_fma_f32 v10, 0xbe8c1d8e, v80, -v133
	v_mul_f32_e32 v150, 0xbf65296c, v134
	v_dual_add_f32 v4, v7, v4 :: v_dual_fmamk_f32 v7, v78, 0xbe8c1d8e, v118
	v_mul_f32_e32 v129, 0x3eb8f4ab, v134
	v_add_f32_e32 v185, v185, v183
	s_delay_alu instid0(VALU_DEP_4) | instskip(NEXT) | instid1(VALU_DEP_4)
	v_fma_f32 v144, 0x3ee437d1, v92, -v150
	v_dual_fmamk_f32 v161, v73, 0xbe8c1d8e, v163 :: v_dual_add_f32 v4, v7, v4
	v_dual_fmamk_f32 v7, v93, 0x3f6eb680, v119 :: v_dual_add_f32 v6, v10, v6
	v_fma_f32 v10, 0x3f6eb680, v92, -v129
	v_mul_f32_e32 v164, 0xbeb8f4ab, v91
	v_mul_f32_e32 v160, 0xbf4c4adb, v9
	s_delay_alu instid0(VALU_DEP_4)
	v_dual_add_f32 v4, v7, v4 :: v_dual_fmamk_f32 v7, v94, 0x3ee437d1, v121
	v_mul_f32_e32 v165, 0xbf06c442, v135
	v_mul_f32_e32 v168, 0xbf4c4adb, v8
	;; [unrolled: 1-line block ×4, first 2 shown]
	v_dual_add_f32 v4, v7, v4 :: v_dual_fmamk_f32 v7, v96, 0xbf59a7d5, v124
	v_add_f32_e32 v6, v10, v6
	v_fma_f32 v10, 0x3ee437d1, v95, -v126
	v_mul_f32_e32 v199, 0xbf763a35, v166
	s_delay_alu instid0(VALU_DEP_4) | instskip(SKIP_1) | instid1(VALU_DEP_4)
	v_dual_mul_f32 v179, 0x3f65296c, v46 :: v_dual_add_f32 v4, v7, v4
	v_fmamk_f32 v7, v98, 0xbf1a4643, v122
	v_add_f32_e32 v6, v10, v6
	v_fma_f32 v10, 0xbf59a7d5, v97, -v127
	v_mul_f32_e32 v190, 0xbeb8f4ab, v145
	v_mul_f32_e32 v202, 0xbe3c28d5, v8
	v_add_f32_e32 v4, v7, v4
	s_delay_alu instid0(VALU_DEP_4)
	v_dual_mul_f32 v200, 0xbf06c442, v47 :: v_dual_add_f32 v5, v10, v6
	v_fma_f32 v6, 0xbf1a4643, v99, -v128
	v_fma_f32 v10, 0x3f3d2fb0, v108, -v132
	v_mul_f32_e32 v198, 0x3f2c7751, v157
	v_mul_f32_e32 v196, 0x3f65296c, v154
	global_wb scope:SCOPE_SE
	v_add_f32_e32 v5, v6, v5
	v_fmamk_f32 v6, v82, 0xbe8c1d8e, v137
	v_fmamk_f32 v7, v107, 0x3f3d2fb0, v125
	s_barrier_signal -1
	s_barrier_wait -1
	global_inv scope:SCOPE_SE
	v_add_f32_e32 v136, v6, v12
	v_add_f32_e32 v6, v7, v4
	v_fma_f32 v4, 0xbe8c1d8e, v83, -v152
	v_mul_f32_e32 v197, 0xbf4c4adb, v145
	v_mul_f32_e32 v177, 0xbf06c442, v9
	v_dual_add_f32 v7, v139, v136 :: v_dual_fmamk_f32 v136, v78, 0x3f3d2fb0, v143
	s_delay_alu instid0(VALU_DEP_4) | instskip(SKIP_4) | instid1(VALU_DEP_4)
	v_add_f32_e32 v4, v4, v13
	v_fma_f32 v139, 0xbf59a7d5, v74, -v153
	v_fmamk_f32 v181, v73, 0x3ee437d1, v179
	v_mul_f32_e32 v191, 0x3f4c4adb, v134
	v_dual_add_f32 v7, v136, v7 :: v_dual_fmamk_f32 v136, v93, 0x3ee437d1, v141
	v_dual_add_f32 v4, v139, v4 :: v_dual_mul_f32 v139, 0x3f7ee86f, v155
	v_mul_f32_e32 v183, 0xbf763a35, v167
	v_mul_f32_e32 v193, 0xbe3c28d5, v154
	s_delay_alu instid0(VALU_DEP_4) | instskip(SKIP_2) | instid1(VALU_DEP_4)
	v_dual_add_f32 v7, v136, v7 :: v_dual_fmamk_f32 v136, v94, 0xbf7ba420, v142
	v_mul_f32_e32 v203, 0x3eb8f4ab, v11
	v_mul_f32_e32 v201, 0x3f2c7751, v134
	v_fma_f32 v11, 0xbf7ba420, v97, -v193
	v_fma_f32 v134, 0x3f3d2fb0, v99, -v198
	v_add_f32_e32 v7, v136, v7
	v_fmamk_f32 v136, v96, 0x3dbcf732, v139
	v_fma_f32 v189, 0x3f6eb680, v74, -v203
	s_delay_alu instid0(VALU_DEP_2) | instskip(SKIP_3) | instid1(VALU_DEP_2)
	v_add_f32_e32 v7, v136, v7
	v_mul_f32_e32 v136, 0xbf4c4adb, v167
	v_add_f32_e32 v4, v140, v4
	v_mul_f32_e32 v140, 0xbeb8f4ab, v158
	v_dual_fmamk_f32 v159, v107, 0xbf1a4643, v136 :: v_dual_add_f32 v4, v144, v4
	v_fma_f32 v144, 0xbf7ba420, v95, -v149
	s_delay_alu instid0(VALU_DEP_3) | instskip(NEXT) | instid1(VALU_DEP_2)
	v_fmamk_f32 v148, v98, 0x3f6eb680, v140
	v_add_f32_e32 v4, v144, v4
	v_mul_f32_e32 v144, 0xbeb8f4ab, v157
	s_delay_alu instid0(VALU_DEP_3) | instskip(NEXT) | instid1(VALU_DEP_3)
	v_dual_add_f32 v148, v148, v7 :: v_dual_add_f32 v7, v10, v5
	v_add_f32_e32 v5, v156, v4
	s_delay_alu instid0(VALU_DEP_3) | instskip(NEXT) | instid1(VALU_DEP_1)
	v_fma_f32 v10, 0x3f6eb680, v99, -v144
	v_add_f32_e32 v5, v10, v5
	v_fmamk_f32 v10, v82, 0xbf1a4643, v160
	s_delay_alu instid0(VALU_DEP_1) | instskip(NEXT) | instid1(VALU_DEP_1)
	v_add_f32_e32 v10, v10, v12
	v_dual_add_f32 v10, v161, v10 :: v_dual_fmamk_f32 v161, v78, 0x3f6eb680, v164
	s_delay_alu instid0(VALU_DEP_1) | instskip(SKIP_4) | instid1(VALU_DEP_3)
	v_add_f32_e32 v10, v161, v10
	v_dual_fmamk_f32 v173, v93, 0xbf59a7d5, v165 :: v_dual_add_f32 v4, v159, v148
	v_mul_f32_e32 v161, 0x3f7ee86f, v146
	v_fma_f32 v159, 0xbf1a4643, v83, -v168
	v_mul_f32_e32 v148, 0xbf4c4adb, v166
	v_dual_add_f32 v10, v173, v10 :: v_dual_fmamk_f32 v173, v94, 0x3dbcf732, v161
	s_delay_alu instid0(VALU_DEP_3) | instskip(NEXT) | instid1(VALU_DEP_3)
	v_add_f32_e32 v159, v159, v13
	v_fma_f32 v156, 0xbf1a4643, v108, -v148
	s_delay_alu instid0(VALU_DEP_2) | instskip(SKIP_2) | instid1(VALU_DEP_4)
	v_dual_add_f32 v10, v173, v10 :: v_dual_add_f32 v159, v162, v159
	v_fma_f32 v162, 0x3f6eb680, v80, -v170
	v_mul_f32_e32 v173, 0xbf2c7751, v154
	v_add_f32_e32 v5, v156, v5
	s_delay_alu instid0(VALU_DEP_3) | instskip(SKIP_1) | instid1(VALU_DEP_4)
	v_add_f32_e32 v159, v162, v159
	v_mul_f32_e32 v162, 0xbf2c7751, v155
	v_fma_f32 v176, 0x3f3d2fb0, v97, -v173
	s_delay_alu instid0(VALU_DEP_3) | instskip(SKIP_1) | instid1(VALU_DEP_1)
	v_add_f32_e32 v159, v174, v159
	v_fma_f32 v174, 0x3dbcf732, v95, -v172
	v_dual_fmamk_f32 v156, v96, 0x3f3d2fb0, v162 :: v_dual_add_f32 v175, v174, v159
	v_dual_mul_f32 v159, 0xbe3c28d5, v158 :: v_dual_mul_f32 v174, 0xbe3c28d5, v157
	s_delay_alu instid0(VALU_DEP_2) | instskip(NEXT) | instid1(VALU_DEP_2)
	v_dual_add_f32 v10, v156, v10 :: v_dual_mul_f32 v157, 0xbf763a35, v157
	v_dual_add_f32 v175, v176, v175 :: v_dual_fmamk_f32 v180, v98, 0xbf7ba420, v159
	s_delay_alu instid0(VALU_DEP_3) | instskip(SKIP_1) | instid1(VALU_DEP_3)
	v_fma_f32 v182, 0xbf7ba420, v99, -v174
	v_mul_f32_e32 v176, 0x3f4c4adb, v135
	v_add_f32_e32 v10, v180, v10
	s_delay_alu instid0(VALU_DEP_3) | instskip(SKIP_1) | instid1(VALU_DEP_4)
	v_dual_add_f32 v204, v182, v175 :: v_dual_mul_f32 v175, 0x3f65296c, v166
	v_mul_f32_e32 v166, 0x3f7ee86f, v166
	v_fmamk_f32 v182, v93, 0xbf1a4643, v176
	s_delay_alu instid0(VALU_DEP_3) | instskip(NEXT) | instid1(VALU_DEP_3)
	v_fma_f32 v205, 0x3ee437d1, v108, -v175
	v_fma_f32 v145, 0x3dbcf732, v108, -v166
	v_fmamk_f32 v156, v82, 0xbf59a7d5, v177
	s_delay_alu instid0(VALU_DEP_1) | instskip(NEXT) | instid1(VALU_DEP_1)
	v_add_f32_e32 v156, v156, v12
	v_dual_add_f32 v180, v181, v156 :: v_dual_fmamk_f32 v181, v78, 0x3dbcf732, v178
	v_mul_f32_e32 v156, 0x3f65296c, v167
	s_delay_alu instid0(VALU_DEP_2) | instskip(NEXT) | instid1(VALU_DEP_2)
	v_dual_add_f32 v180, v181, v180 :: v_dual_mul_f32 v181, 0xbeb8f4ab, v146
	v_fmamk_f32 v186, v107, 0x3ee437d1, v156
	s_delay_alu instid0(VALU_DEP_2) | instskip(NEXT) | instid1(VALU_DEP_3)
	v_add_f32_e32 v182, v182, v180
	v_fmamk_f32 v184, v94, 0x3f6eb680, v181
	v_mul_f32_e32 v180, 0xbe3c28d5, v155
	s_delay_alu instid0(VALU_DEP_4) | instskip(SKIP_1) | instid1(VALU_DEP_4)
	v_add_f32_e32 v10, v186, v10
	v_fma_f32 v186, 0x3f6eb680, v95, -v190
	v_add_f32_e32 v184, v184, v182
	s_delay_alu instid0(VALU_DEP_4) | instskip(SKIP_2) | instid1(VALU_DEP_3)
	v_fmamk_f32 v187, v96, 0xbf7ba420, v180
	v_mul_f32_e32 v182, 0x3f2c7751, v158
	v_mul_f32_e32 v158, 0xbf763a35, v158
	v_add_f32_e32 v184, v187, v184
	v_fma_f32 v187, 0xbf1a4643, v92, -v191
	s_delay_alu instid0(VALU_DEP_1) | instskip(NEXT) | instid1(VALU_DEP_1)
	v_dual_fmamk_f32 v188, v98, 0x3f3d2fb0, v182 :: v_dual_add_f32 v185, v187, v185
	v_dual_add_f32 v8, v186, v185 :: v_dual_mul_f32 v185, 0x3eb8f4ab, v46
	s_delay_alu instid0(VALU_DEP_2) | instskip(SKIP_2) | instid1(VALU_DEP_4)
	v_add_f32_e32 v206, v188, v184
	v_mul_f32_e32 v184, 0xbe3c28d5, v9
	v_fma_f32 v46, 0xbf7ba420, v83, -v202
	v_add_f32_e32 v8, v11, v8
	v_fmamk_f32 v188, v73, 0x3f6eb680, v185
	v_fmamk_f32 v9, v107, 0xbe8c1d8e, v183
	;; [unrolled: 1-line block ×3, first 2 shown]
	v_add_f32_e32 v46, v46, v13
	v_add_f32_e32 v134, v134, v8
	s_delay_alu instid0(VALU_DEP_3) | instskip(NEXT) | instid1(VALU_DEP_3)
	v_dual_add_f32 v187, v186, v12 :: v_dual_mul_f32 v186, 0xbf06c442, v91
	v_add_f32_e32 v46, v189, v46
	v_fma_f32 v91, 0xbf59a7d5, v80, -v200
	v_mul_f32_e32 v189, 0x3f65296c, v155
	s_delay_alu instid0(VALU_DEP_4) | instskip(SKIP_4) | instid1(VALU_DEP_4)
	v_add_f32_e32 v11, v188, v187
	v_fmamk_f32 v47, v78, 0xbf59a7d5, v186
	v_mul_f32_e32 v188, 0x3f2c7751, v135
	v_mul_f32_e32 v155, 0x3f7ee86f, v167
	;; [unrolled: 1-line block ×3, first 2 shown]
	v_add_f32_e32 v11, v47, v11
	s_delay_alu instid0(VALU_DEP_4) | instskip(NEXT) | instid1(VALU_DEP_4)
	v_fmamk_f32 v47, v93, 0x3f3d2fb0, v188
	v_fmamk_f32 v135, v107, 0x3dbcf732, v155
	v_add_f32_e32 v46, v91, v46
	v_fma_f32 v91, 0x3f3d2fb0, v92, -v201
	s_delay_alu instid0(VALU_DEP_4) | instskip(NEXT) | instid1(VALU_DEP_2)
	v_add_f32_e32 v11, v47, v11
	v_dual_fmamk_f32 v47, v94, 0xbf1a4643, v187 :: v_dual_add_f32 v46, v91, v46
	v_fma_f32 v91, 0xbf1a4643, v95, -v197
	s_delay_alu instid0(VALU_DEP_2) | instskip(SKIP_1) | instid1(VALU_DEP_3)
	v_add_f32_e32 v8, v47, v11
	v_fma_f32 v47, 0x3ee437d1, v97, -v196
	v_dual_add_f32 v11, v91, v46 :: v_dual_fmamk_f32 v46, v96, 0x3ee437d1, v189
	s_delay_alu instid0(VALU_DEP_1) | instskip(SKIP_3) | instid1(VALU_DEP_2)
	v_dual_add_f32 v11, v47, v11 :: v_dual_add_f32 v8, v46, v8
	v_fmamk_f32 v46, v98, 0xbe8c1d8e, v158
	v_fma_f32 v47, 0xbe8c1d8e, v99, -v157
	v_fma_f32 v91, 0xbe8c1d8e, v108, -v199
	v_dual_add_f32 v46, v46, v8 :: v_dual_add_f32 v47, v47, v11
	v_add_f32_e32 v11, v205, v204
	v_add_f32_e32 v8, v9, v206
	s_delay_alu instid0(VALU_DEP_4) | instskip(NEXT) | instid1(VALU_DEP_4)
	v_add_f32_e32 v9, v91, v134
	v_dual_add_f32 v46, v135, v46 :: v_dual_add_f32 v47, v145, v47
	v_mul_lo_u16 v91, v90, 17
	s_and_saveexec_b32 s0, vcc_lo
	s_cbranch_execz .LBB0_7
; %bb.6:
	v_dual_mul_f32 v206, 0xbf7ba420, v83 :: v_dual_mul_f32 v213, 0xbf7ba420, v82
	v_dual_mul_f32 v211, 0xbf59a7d5, v82 :: v_dual_mul_f32 v212, 0xbf59a7d5, v83
	;; [unrolled: 1-line block ×3, first 2 shown]
	s_delay_alu instid0(VALU_DEP_3) | instskip(NEXT) | instid1(VALU_DEP_3)
	v_add_f32_e32 v202, v202, v206
	v_dual_mul_f32 v206, 0x3f6eb680, v74 :: v_dual_sub_f32 v177, v211, v177
	v_dual_mul_f32 v145, 0x3f3d2fb0, v82 :: v_dual_mul_f32 v146, 0x3f3d2fb0, v83
	s_delay_alu instid0(VALU_DEP_2) | instskip(SKIP_3) | instid1(VALU_DEP_4)
	v_dual_add_f32 v202, v202, v13 :: v_dual_add_f32 v203, v203, v206
	v_dual_mul_f32 v154, 0x3ee437d1, v82 :: v_dual_mul_f32 v167, 0x3ee437d1, v83
	v_add_f32_e32 v194, v194, v212
	v_dual_mul_f32 v212, 0x3dbcf732, v74 :: v_dual_add_f32 v177, v177, v12
	v_add_f32_e32 v202, v203, v202
	s_delay_alu instid0(VALU_DEP_3) | instskip(SKIP_2) | instid1(VALU_DEP_3)
	v_dual_mul_f32 v203, 0x3ee437d1, v74 :: v_dual_add_f32 v194, v194, v13
	v_dual_mul_f32 v204, 0x3dbcf732, v82 :: v_dual_mul_f32 v205, 0x3dbcf732, v83
	v_dual_mul_f32 v207, 0xbe8c1d8e, v82 :: v_dual_mul_f32 v208, 0xbe8c1d8e, v83
	v_add_f32_e32 v195, v195, v203
	v_mul_f32_e32 v203, 0xbf1a4643, v73
	v_dual_mul_f32 v209, 0xbf1a4643, v82 :: v_dual_mul_f32 v210, 0xbf1a4643, v83
	v_dual_mul_f32 v82, 0x3f3d2fb0, v73 :: v_dual_mul_f32 v83, 0x3f3d2fb0, v74
	s_delay_alu instid0(VALU_DEP_4) | instskip(SKIP_3) | instid1(VALU_DEP_4)
	v_dual_add_f32 v194, v195, v194 :: v_dual_mul_f32 v195, 0x3ee437d1, v73
	v_mul_f32_e32 v214, 0xbf59a7d5, v80
	v_mul_f32_e32 v211, 0xbf7ba420, v73
	v_mul_f32_e32 v216, 0x3f6eb680, v73
	v_dual_sub_f32 v184, v213, v184 :: v_dual_sub_f32 v179, v195, v179
	s_delay_alu instid0(VALU_DEP_4) | instskip(SKIP_1) | instid1(VALU_DEP_3)
	v_add_f32_e32 v200, v200, v214
	v_mul_f32_e32 v214, 0x3f3d2fb0, v92
	v_dual_mul_f32 v195, 0xbf59a7d5, v73 :: v_dual_add_f32 v184, v184, v12
	s_delay_alu instid0(VALU_DEP_4) | instskip(NEXT) | instid1(VALU_DEP_3)
	v_add_f32_e32 v177, v179, v177
	v_dual_mul_f32 v206, 0x3dbcf732, v73 :: v_dual_add_f32 v201, v201, v214
	v_add_f32_e32 v200, v200, v202
	v_mul_f32_e32 v214, 0x3dbcf732, v80
	v_mul_f32_e32 v179, 0xbf59a7d5, v74
	v_add_f32_e32 v168, v168, v210
	v_sub_f32_e32 v160, v209, v160
	v_add_f32_e32 v200, v201, v200
	v_add_f32_e32 v192, v192, v214
	s_delay_alu instid0(VALU_DEP_4) | instskip(SKIP_3) | instid1(VALU_DEP_4)
	v_dual_mul_f32 v201, 0x3dbcf732, v78 :: v_dual_add_f32 v168, v168, v13
	v_add_f32_e32 v14, v14, v12
	v_sub_f32_e32 v120, v204, v120
	v_sub_f32_e32 v102, v203, v102
	v_dual_sub_f32 v178, v201, v178 :: v_dual_mul_f32 v201, 0xbe8c1d8e, v73
	v_add_f32_e32 v192, v192, v194
	v_mul_f32_e32 v194, 0xbf1a4643, v92
	s_delay_alu instid0(VALU_DEP_3) | instskip(SKIP_1) | instid1(VALU_DEP_3)
	v_dual_mul_f32 v202, 0xbf1a4643, v74 :: v_dual_add_f32 v73, v178, v177
	v_add_f32_e32 v14, v32, v14
	v_dual_sub_f32 v56, v145, v56 :: v_dual_add_f32 v191, v191, v194
	v_mul_f32_e32 v194, 0xbf1a4643, v93
	v_mul_f32_e32 v215, 0xbe8c1d8e, v74
	;; [unrolled: 1-line block ×3, first 2 shown]
	s_delay_alu instid0(VALU_DEP_4) | instskip(NEXT) | instid1(VALU_DEP_4)
	v_dual_mul_f32 v213, 0xbf1a4643, v94 :: v_dual_add_f32 v178, v191, v192
	v_dual_sub_f32 v176, v194, v176 :: v_dual_mul_f32 v191, 0x3f6eb680, v94
	v_mul_f32_e32 v194, 0xbf1a4643, v95
	v_dual_mul_f32 v214, 0xbf7ba420, v74 :: v_dual_sub_f32 v185, v216, v185
	s_delay_alu instid0(VALU_DEP_3) | instskip(NEXT) | instid1(VALU_DEP_4)
	v_add_f32_e32 v73, v176, v73
	v_dual_sub_f32 v181, v191, v181 :: v_dual_mul_f32 v74, 0x3f6eb680, v95
	s_delay_alu instid0(VALU_DEP_4) | instskip(SKIP_1) | instid1(VALU_DEP_3)
	v_dual_add_f32 v194, v197, v194 :: v_dual_mul_f32 v197, 0x3f3d2fb0, v80
	v_mul_f32_e32 v191, 0xbf1a4643, v78
	v_dual_add_f32 v73, v181, v73 :: v_dual_add_f32 v74, v190, v74
	s_delay_alu instid0(VALU_DEP_3)
	v_add_f32_e32 v194, v194, v200
	v_mul_f32_e32 v176, 0xbf7ba420, v97
	v_mul_f32_e32 v181, 0x3f3d2fb0, v99
	;; [unrolled: 1-line block ×3, first 2 shown]
	v_add_f32_e32 v184, v185, v184
	v_mul_f32_e32 v200, 0xbf7ba420, v93
	v_add_f32_e32 v176, v193, v176
	v_dual_mul_f32 v193, 0xbf7ba420, v80 :: v_dual_add_f32 v74, v74, v178
	v_add_f32_e32 v181, v198, v181
	v_dual_mul_f32 v198, 0x3dbcf732, v93 :: v_dual_add_f32 v169, v169, v215
	v_add_f32_e32 v56, v56, v12
	s_delay_alu instid0(VALU_DEP_4) | instskip(SKIP_3) | instid1(VALU_DEP_4)
	v_add_f32_e32 v74, v176, v74
	v_mul_f32_e32 v176, 0x3f3d2fb0, v98
	v_sub_f32_e32 v76, v206, v76
	v_dual_add_f32 v14, v34, v14 :: v_dual_sub_f32 v163, v201, v163
	v_add_f32_e32 v74, v181, v74
	s_delay_alu instid0(VALU_DEP_4)
	v_sub_f32_e32 v176, v176, v182
	v_mul_f32_e32 v178, 0xbf7ba420, v96
	v_mul_f32_e32 v181, 0xbe8c1d8e, v107
	;; [unrolled: 1-line block ×3, first 2 shown]
	v_add_f32_e32 v168, v169, v168
	v_mul_f32_e32 v185, 0x3dbcf732, v108
	s_delay_alu instid0(VALU_DEP_4) | instskip(SKIP_1) | instid1(VALU_DEP_3)
	v_dual_sub_f32 v178, v178, v180 :: v_dual_sub_f32 v181, v181, v183
	v_mul_f32_e32 v183, 0x3f3d2fb0, v78
	v_dual_sub_f32 v187, v213, v187 :: v_dual_add_f32 v166, v166, v185
	s_delay_alu instid0(VALU_DEP_3)
	v_add_f32_e32 v73, v178, v73
	v_mul_f32_e32 v185, 0x3f6eb680, v93
	v_mul_f32_e32 v213, 0xbe8c1d8e, v95
	;; [unrolled: 1-line block ×4, first 2 shown]
	v_dual_add_f32 v73, v176, v73 :: v_dual_mul_f32 v192, 0xbf1a4643, v80
	v_mul_f32_e32 v176, 0xbe8c1d8e, v80
	s_delay_alu instid0(VALU_DEP_4) | instskip(NEXT) | instid1(VALU_DEP_3)
	v_dual_mul_f32 v80, 0x3f6eb680, v80 :: v_dual_sub_f32 v169, v169, v189
	v_add_f32_e32 v73, v181, v73
	v_mul_f32_e32 v181, 0x3ee437d1, v97
	v_mul_f32_e32 v180, 0xbf7ba420, v78
	s_delay_alu instid0(VALU_DEP_4)
	v_add_f32_e32 v80, v170, v80
	v_mul_f32_e32 v170, 0xbf59a7d5, v94
	v_mul_f32_e32 v189, 0x3f3d2fb0, v94
	v_dual_add_f32 v181, v196, v181 :: v_dual_mul_f32 v196, 0xbe8c1d8e, v99
	v_mul_f32_e32 v182, 0xbe8c1d8e, v78
	v_dual_add_f32 v84, v84, v192 :: v_dual_mul_f32 v209, 0xbf1a4643, v97
	s_delay_alu instid0(VALU_DEP_3) | instskip(NEXT) | instid1(VALU_DEP_4)
	v_add_f32_e32 v181, v181, v194
	v_add_f32_e32 v157, v157, v196
	v_mul_f32_e32 v178, 0xbe8c1d8e, v108
	v_mul_f32_e32 v196, 0xbe8c1d8e, v93
	;; [unrolled: 1-line block ×3, first 2 shown]
	s_delay_alu instid0(VALU_DEP_4) | instskip(NEXT) | instid1(VALU_DEP_4)
	v_dual_add_f32 v80, v80, v168 :: v_dual_add_f32 v157, v157, v181
	v_dual_add_f32 v178, v199, v178 :: v_dual_mul_f32 v199, 0x3dbcf732, v92
	v_mul_f32_e32 v181, 0x3f3d2fb0, v93
	v_dual_mul_f32 v168, 0xbe8c1d8e, v98 :: v_dual_add_f32 v153, v153, v179
	s_delay_alu instid0(VALU_DEP_3) | instskip(SKIP_1) | instid1(VALU_DEP_4)
	v_add_f32_e32 v74, v178, v74
	v_mul_f32_e32 v178, 0x3f6eb680, v78
	v_dual_mul_f32 v78, 0xbf59a7d5, v78 :: v_dual_sub_f32 v181, v181, v188
	v_mul_f32_e32 v188, 0x3ee437d1, v93
	v_mul_f32_e32 v93, 0xbf59a7d5, v93
	;; [unrolled: 1-line block ×3, first 2 shown]
	s_delay_alu instid0(VALU_DEP_4) | instskip(SKIP_1) | instid1(VALU_DEP_4)
	v_sub_f32_e32 v78, v78, v186
	v_mul_f32_e32 v186, 0xbe8c1d8e, v92
	v_dual_sub_f32 v158, v168, v158 :: v_dual_sub_f32 v93, v93, v165
	s_delay_alu instid0(VALU_DEP_3)
	v_dual_mul_f32 v165, 0xbf59a7d5, v98 :: v_dual_add_f32 v78, v78, v184
	v_mul_f32_e32 v184, 0x3f6eb680, v92
	v_mul_f32_e32 v92, 0xbf59a7d5, v92
	v_sub_f32_e32 v138, v195, v138
	v_add_f32_e32 v160, v160, v12
	v_mul_f32_e32 v168, 0x3ee437d1, v94
	s_delay_alu instid0(VALU_DEP_4) | instskip(SKIP_1) | instid1(VALU_DEP_4)
	v_dual_mul_f32 v179, 0x3dbcf732, v98 :: v_dual_add_f32 v92, v171, v92
	v_dual_mul_f32 v171, 0x3f3d2fb0, v95 :: v_dual_add_f32 v78, v181, v78
	v_add_f32_e32 v160, v163, v160
	v_mul_f32_e32 v163, 0x3f6eb680, v96
	v_mul_f32_e32 v181, 0xbe8c1d8e, v94
	v_sub_f32_e32 v143, v183, v143
	v_dual_add_f32 v78, v187, v78 :: v_dual_mul_f32 v187, 0xbf59a7d5, v95
	v_sub_f32_e32 v164, v178, v164
	v_mul_f32_e32 v195, 0xbf7ba420, v108
	s_delay_alu instid0(VALU_DEP_3) | instskip(SKIP_2) | instid1(VALU_DEP_3)
	v_dual_add_f32 v151, v151, v197 :: v_dual_add_f32 v78, v169, v78
	v_dual_mul_f32 v169, 0x3dbcf732, v95 :: v_dual_add_f32 v150, v150, v210
	v_mul_f32_e32 v183, 0xbf59a7d5, v108
	v_dual_mul_f32 v197, 0xbf7ba420, v107 :: v_dual_add_f32 v158, v158, v78
	s_delay_alu instid0(VALU_DEP_3) | instskip(SKIP_4) | instid1(VALU_DEP_4)
	v_dual_add_f32 v169, v172, v169 :: v_dual_mul_f32 v172, 0xbf7ba420, v94
	v_mul_f32_e32 v94, 0x3dbcf732, v94
	v_mul_f32_e32 v78, 0x3f3d2fb0, v97
	;; [unrolled: 1-line block ×3, first 2 shown]
	v_sub_f32_e32 v32, v201, v69
	v_dual_add_f32 v113, v113, v167 :: v_dual_sub_f32 v94, v94, v161
	v_dual_mul_f32 v161, 0x3ee437d1, v99 :: v_dual_add_f32 v80, v92, v80
	v_dual_add_f32 v78, v173, v78 :: v_dual_mul_f32 v173, 0xbf7ba420, v99
	v_mul_f32_e32 v92, 0x3ee437d1, v95
	s_delay_alu instid0(VALU_DEP_3) | instskip(NEXT) | instid1(VALU_DEP_4)
	v_dual_mul_f32 v95, 0xbf7ba420, v95 :: v_dual_add_f32 v80, v169, v80
	v_dual_mul_f32 v169, 0xbf1a4643, v96 :: v_dual_add_f32 v72, v72, v161
	s_delay_alu instid0(VALU_DEP_2) | instskip(NEXT) | instid1(VALU_DEP_3)
	v_dual_sub_f32 v100, v154, v100 :: v_dual_add_f32 v95, v149, v95
	v_add_f32_e32 v78, v78, v80
	v_dual_add_f32 v80, v174, v173 :: v_dual_mul_f32 v149, 0x3f3d2fb0, v108
	v_dual_mul_f32 v173, 0x3dbcf732, v107 :: v_dual_add_f32 v92, v126, v92
	v_add_f32_e32 v56, v76, v56
	s_delay_alu instid0(VALU_DEP_3) | instskip(NEXT) | instid1(VALU_DEP_3)
	v_add_f32_e32 v80, v80, v78
	v_dual_add_f32 v78, v164, v160 :: v_dual_sub_f32 v155, v173, v155
	v_dual_mul_f32 v173, 0xbf59a7d5, v96 :: v_dual_sub_f32 v76, v191, v77
	v_add_f32_e32 v57, v57, v146
	s_delay_alu instid0(VALU_DEP_3) | instskip(SKIP_1) | instid1(VALU_DEP_4)
	v_dual_add_f32 v78, v93, v78 :: v_dual_add_f32 v93, v152, v208
	v_dual_mul_f32 v160, 0x3ee437d1, v108 :: v_dual_sub_f32 v141, v188, v141
	v_add_f32_e32 v56, v76, v56
	s_delay_alu instid0(VALU_DEP_3) | instskip(NEXT) | instid1(VALU_DEP_3)
	v_dual_add_f32 v94, v94, v78 :: v_dual_add_f32 v93, v93, v13
	v_dual_add_f32 v160, v175, v160 :: v_dual_mul_f32 v175, 0xbf59a7d5, v99
	v_dual_sub_f32 v76, v200, v79 :: v_dual_add_f32 v85, v85, v194
	s_delay_alu instid0(VALU_DEP_3) | instskip(SKIP_4) | instid1(VALU_DEP_4)
	v_add_f32_e32 v78, v153, v93
	v_sub_f32_e32 v93, v207, v137
	v_mul_f32_e32 v153, 0xbf1a4643, v99
	v_mul_f32_e32 v207, 0x3f6eb680, v108
	;; [unrolled: 1-line block ×3, first 2 shown]
	v_dual_add_f32 v78, v151, v78 :: v_dual_add_f32 v93, v93, v12
	v_mul_f32_e32 v208, 0x3dbcf732, v99
	v_mul_f32_e32 v99, 0x3f6eb680, v99
	;; [unrolled: 1-line block ×3, first 2 shown]
	s_delay_alu instid0(VALU_DEP_4) | instskip(SKIP_3) | instid1(VALU_DEP_4)
	v_add_f32_e32 v150, v150, v78
	v_mul_f32_e32 v174, 0x3f6eb680, v97
	v_add_f32_e32 v93, v138, v93
	v_mul_f32_e32 v151, 0x3f6eb680, v107
	v_dual_mul_f32 v138, 0xbf59a7d5, v107 :: v_dual_add_f32 v95, v95, v150
	v_mul_f32_e32 v178, 0xbf59a7d5, v97
	v_dual_mul_f32 v97, 0x3dbcf732, v97 :: v_dual_mul_f32 v164, 0x3dbcf732, v96
	v_dual_add_f32 v93, v143, v93 :: v_dual_mul_f32 v96, 0x3f3d2fb0, v96
	v_mul_f32_e32 v143, 0xbf1a4643, v107
	s_delay_alu instid0(VALU_DEP_3) | instskip(SKIP_1) | instid1(VALU_DEP_4)
	v_add_f32_e32 v97, v147, v97
	v_mul_f32_e32 v107, 0x3ee437d1, v107
	v_dual_add_f32 v93, v141, v93 :: v_dual_mul_f32 v152, 0x3ee437d1, v98
	s_delay_alu instid0(VALU_DEP_3) | instskip(SKIP_1) | instid1(VALU_DEP_4)
	v_dual_sub_f32 v96, v96, v162 :: v_dual_add_f32 v95, v97, v95
	v_dual_add_f32 v97, v144, v99 :: v_dual_mul_f32 v162, 0xbf1a4643, v98
	v_sub_f32_e32 v107, v107, v156
	v_dual_add_f32 v99, v131, v214 :: v_dual_add_f32 v100, v100, v12
	v_add_f32_e32 v69, v75, v207
	s_delay_alu instid0(VALU_DEP_4) | instskip(SKIP_4) | instid1(VALU_DEP_4)
	v_add_f32_e32 v95, v97, v95
	v_dual_add_f32 v97, v148, v108 :: v_dual_mul_f32 v98, 0xbf7ba420, v98
	v_add_f32_e32 v94, v96, v94
	v_sub_f32_e32 v108, v137, v140
	v_dual_add_f32 v80, v160, v80 :: v_dual_add_f32 v15, v15, v13
	v_sub_f32_e32 v96, v98, v159
	v_sub_f32_e32 v98, v172, v142
	v_add_f32_e32 v56, v76, v56
	s_delay_alu instid0(VALU_DEP_4) | instskip(NEXT) | instid1(VALU_DEP_4)
	v_dual_sub_f32 v76, v170, v81 :: v_dual_add_f32 v15, v33, v15
	v_add_f32_e32 v96, v96, v94
	v_add_f32_e32 v94, v130, v205
	v_dual_add_f32 v93, v98, v93 :: v_dual_sub_f32 v98, v164, v139
	s_delay_alu instid0(VALU_DEP_4) | instskip(NEXT) | instid1(VALU_DEP_3)
	v_dual_add_f32 v15, v35, v15 :: v_dual_add_f32 v56, v76, v56
	v_add_f32_e32 v94, v94, v13
	v_sub_f32_e32 v34, v152, v70
	s_delay_alu instid0(VALU_DEP_4) | instskip(NEXT) | instid1(VALU_DEP_3)
	v_dual_add_f32 v98, v98, v93 :: v_dual_add_f32 v93, v97, v95
	v_dual_add_f32 v97, v129, v184 :: v_dual_add_f32 v94, v99, v94
	v_add_f32_e32 v99, v133, v176
	s_delay_alu instid0(VALU_DEP_3) | instskip(SKIP_2) | instid1(VALU_DEP_4)
	v_add_f32_e32 v95, v108, v98
	v_add_f32_e32 v98, v120, v12
	v_dual_sub_f32 v108, v143, v136 :: v_dual_add_f32 v15, v37, v15
	v_add_f32_e32 v94, v99, v94
	v_dual_sub_f32 v99, v211, v123 :: v_dual_add_f32 v32, v32, v56
	v_add_f32_e32 v35, v36, v14
	s_delay_alu instid0(VALU_DEP_3) | instskip(NEXT) | instid1(VALU_DEP_3)
	v_dual_add_f32 v15, v39, v15 :: v_dual_add_f32 v94, v97, v94
	v_add_f32_e32 v97, v99, v98
	v_dual_sub_f32 v98, v182, v118 :: v_dual_add_f32 v99, v113, v13
	v_add_f32_e32 v113, v114, v202
	v_add_f32_e32 v78, v166, v157
	s_delay_alu instid0(VALU_DEP_3) | instskip(SKIP_1) | instid1(VALU_DEP_4)
	v_dual_add_f32 v92, v92, v94 :: v_dual_add_f32 v97, v98, v97
	v_sub_f32_e32 v98, v185, v119
	v_add_f32_e32 v99, v113, v99
	v_add_f32_e32 v113, v115, v193
	;; [unrolled: 1-line block ×5, first 2 shown]
	s_delay_alu instid0(VALU_DEP_4) | instskip(NEXT) | instid1(VALU_DEP_4)
	v_dual_sub_f32 v98, v168, v121 :: v_dual_add_f32 v99, v113, v99
	v_dual_add_f32 v113, v116, v186 :: v_dual_add_f32 v94, v94, v92
	v_dual_add_f32 v92, v108, v95 :: v_dual_sub_f32 v79, v138, v105
	s_delay_alu instid0(VALU_DEP_3) | instskip(SKIP_1) | instid1(VALU_DEP_4)
	v_add_f32_e32 v95, v98, v97
	v_sub_f32_e32 v97, v173, v124
	v_add_f32_e32 v98, v113, v99
	v_add_f32_e32 v94, v114, v94
	v_dual_add_f32 v108, v132, v149 :: v_dual_sub_f32 v113, v162, v122
	s_delay_alu instid0(VALU_DEP_4) | instskip(SKIP_1) | instid1(VALU_DEP_3)
	v_add_f32_e32 v97, v97, v95
	v_dual_add_f32 v99, v117, v171 :: v_dual_add_f32 v32, v34, v32
	v_dual_add_f32 v95, v108, v94 :: v_dual_add_f32 v34, v38, v35
	s_delay_alu instid0(VALU_DEP_3) | instskip(NEXT) | instid1(VALU_DEP_3)
	v_add_f32_e32 v94, v113, v97
	v_add_f32_e32 v98, v99, v98
	;; [unrolled: 1-line block ×3, first 2 shown]
	v_sub_f32_e32 v35, v151, v71
	v_dual_add_f32 v15, v41, v15 :: v_dual_add_f32 v86, v86, v212
	s_delay_alu instid0(VALU_DEP_3) | instskip(SKIP_2) | instid1(VALU_DEP_4)
	v_dual_sub_f32 v36, v134, v48 :: v_dual_add_f32 v97, v99, v98
	v_add_f32_e32 v98, v112, v208
	v_dual_add_f32 v99, v102, v100 :: v_dual_sub_f32 v100, v180, v109
	v_dual_sub_f32 v102, v210, v125 :: v_dual_add_f32 v15, v43, v15
	s_delay_alu instid0(VALU_DEP_3) | instskip(NEXT) | instid1(VALU_DEP_3)
	v_dual_add_f32 v97, v98, v97 :: v_dual_add_f32 v12, v36, v12
	v_add_f32_e32 v99, v100, v99
	v_sub_f32_e32 v100, v196, v106
	v_add_f32_e32 v106, v57, v13
	v_dual_add_f32 v15, v29, v15 :: v_dual_sub_f32 v36, v82, v50
	v_dual_sub_f32 v29, v177, v52 :: v_dual_add_f32 v94, v102, v94
	s_delay_alu instid0(VALU_DEP_2) | instskip(NEXT) | instid1(VALU_DEP_3)
	v_dual_add_f32 v86, v86, v106 :: v_dual_add_f32 v15, v31, v15
	v_add_f32_e32 v12, v36, v12
	s_delay_alu instid0(VALU_DEP_2) | instskip(NEXT) | instid1(VALU_DEP_2)
	v_dual_add_f32 v84, v84, v86 :: v_dual_add_f32 v15, v25, v15
	v_dual_add_f32 v25, v59, v213 :: v_dual_add_f32 v12, v29, v12
	s_delay_alu instid0(VALU_DEP_2) | instskip(SKIP_1) | instid1(VALU_DEP_2)
	v_dual_sub_f32 v29, v198, v54 :: v_dual_add_f32 v84, v85, v84
	v_add_f32_e32 v85, v87, v187
	v_dual_add_f32 v15, v27, v15 :: v_dual_add_f32 v12, v29, v12
	s_delay_alu instid0(VALU_DEP_1) | instskip(NEXT) | instid1(VALU_DEP_3)
	v_add_f32_e32 v15, v21, v15
	v_dual_add_f32 v84, v85, v84 :: v_dual_add_f32 v85, v88, v215
	v_sub_f32_e32 v21, v169, v60
	s_delay_alu instid0(VALU_DEP_3) | instskip(NEXT) | instid1(VALU_DEP_3)
	v_add_f32_e32 v15, v23, v15
	v_add_f32_e32 v81, v85, v84
	s_delay_alu instid0(VALU_DEP_2) | instskip(SKIP_1) | instid1(VALU_DEP_3)
	v_add_f32_e32 v15, v17, v15
	v_add_f32_e32 v17, v68, v195
	;; [unrolled: 1-line block ×3, first 2 shown]
	s_delay_alu instid0(VALU_DEP_1) | instskip(SKIP_1) | instid1(VALU_DEP_1)
	v_dual_add_f32 v19, v19, v15 :: v_dual_add_f32 v14, v69, v33
	v_add_f32_e32 v33, v49, v135
	v_dual_add_f32 v98, v110, v183 :: v_dual_add_f32 v13, v33, v13
	v_add_f32_e32 v33, v40, v34
	s_delay_alu instid0(VALU_DEP_2) | instskip(SKIP_1) | instid1(VALU_DEP_3)
	v_add_f32_e32 v57, v98, v97
	v_dual_add_f32 v97, v100, v99 :: v_dual_sub_f32 v98, v189, v101
	v_dual_add_f32 v34, v51, v83 :: v_dual_add_f32 v33, v42, v33
	s_delay_alu instid0(VALU_DEP_1) | instskip(NEXT) | instid1(VALU_DEP_2)
	v_add_f32_e32 v13, v34, v13
	v_dual_add_f32 v28, v28, v33 :: v_dual_add_f32 v33, v55, v199
	s_delay_alu instid0(VALU_DEP_4) | instskip(SKIP_1) | instid1(VALU_DEP_3)
	v_dual_add_f32 v97, v98, v97 :: v_dual_sub_f32 v98, v163, v103
	v_add_f32_e32 v34, v53, v190
	v_add_f32_e32 v28, v30, v28
	s_delay_alu instid0(VALU_DEP_3) | instskip(NEXT) | instid1(VALU_DEP_2)
	v_add_f32_e32 v77, v98, v97
	v_dual_add_f32 v13, v34, v13 :: v_dual_add_f32 v24, v24, v28
	v_sub_f32_e32 v28, v181, v58
	s_delay_alu instid0(VALU_DEP_2) | instskip(SKIP_1) | instid1(VALU_DEP_2)
	v_dual_add_f32 v13, v33, v13 :: v_dual_add_f32 v24, v26, v24
	v_sub_f32_e32 v86, v179, v104
	v_dual_add_f32 v12, v28, v12 :: v_dual_add_f32 v13, v25, v13
	s_delay_alu instid0(VALU_DEP_3) | instskip(SKIP_1) | instid1(VALU_DEP_3)
	v_dual_add_f32 v20, v20, v24 :: v_dual_add_f32 v25, v61, v209
	v_add_f32_e32 v24, v66, v175
	v_add_f32_e32 v12, v21, v12
	s_delay_alu instid0(VALU_DEP_3) | instskip(NEXT) | instid1(VALU_DEP_4)
	v_dual_sub_f32 v21, v165, v65 :: v_dual_add_f32 v20, v22, v20
	v_add_f32_e32 v13, v25, v13
	v_dual_add_f32 v77, v86, v77 :: v_dual_and_b32 v22, 0xffff, v91
	s_delay_alu instid0(VALU_DEP_3) | instskip(NEXT) | instid1(VALU_DEP_4)
	v_add_f32_e32 v12, v21, v12
	v_add_f32_e32 v16, v16, v20
	s_delay_alu instid0(VALU_DEP_4) | instskip(NEXT) | instid1(VALU_DEP_4)
	v_dual_add_f32 v13, v24, v13 :: v_dual_sub_f32 v20, v197, v67
	v_add_f32_e32 v56, v79, v77
	v_add_f32_e32 v79, v107, v96
	s_delay_alu instid0(VALU_DEP_3) | instskip(NEXT) | instid1(VALU_DEP_4)
	v_dual_add_f32 v21, v18, v16 :: v_dual_add_f32 v16, v17, v13
	v_dual_add_f32 v15, v20, v12 :: v_dual_add_f32 v18, v45, v19
	s_delay_alu instid0(VALU_DEP_2)
	v_dual_add_f32 v17, v44, v21 :: v_dual_lshlrev_b32 v12, 3, v22
	v_add_f32_e32 v13, v35, v32
	v_add_f32_e32 v77, v155, v158
	ds_store_2addr_b64 v12, v[17:18], v[15:16] offset1:1
	ds_store_2addr_b64 v12, v[13:14], v[56:57] offset0:2 offset1:3
	ds_store_2addr_b64 v12, v[94:95], v[92:93] offset0:4 offset1:5
	;; [unrolled: 1-line block ×7, first 2 shown]
	ds_store_b64 v12, v[63:64] offset:128
.LBB0_7:
	s_wait_alu 0xfffe
	s_or_b32 exec_lo, exec_lo, s0
	v_and_b32_e32 v12, 0xff, v90
	s_load_b128 s[4:7], s[4:5], 0x0
	global_wb scope:SCOPE_SE
	s_wait_dscnt 0x0
	s_wait_kmcnt 0x0
	s_barrier_signal -1
	s_barrier_wait -1
	v_mul_lo_u16 v12, 0xf1, v12
	global_inv scope:SCOPE_SE
	v_cmp_gt_u16_e64 s0, 51, v90
	v_lshrrev_b16 v36, 12, v12
	s_delay_alu instid0(VALU_DEP_1) | instskip(NEXT) | instid1(VALU_DEP_1)
	v_mul_lo_u16 v12, v36, 17
	v_sub_nc_u16 v12, v90, v12
	s_delay_alu instid0(VALU_DEP_1) | instskip(NEXT) | instid1(VALU_DEP_1)
	v_and_b32_e32 v49, 0xff, v12
	v_lshlrev_b32_e32 v12, 6, v49
	s_clause 0x3
	global_load_b128 v[24:27], v12, s[2:3]
	global_load_b128 v[20:23], v12, s[2:3] offset:16
	global_load_b128 v[16:19], v12, s[2:3] offset:32
	;; [unrolled: 1-line block ×3, first 2 shown]
	v_add_nc_u32_e32 v50, 0x400, v89
	v_add_nc_u32_e32 v48, 0x800, v89
	ds_load_2addr_b64 v[28:31], v89 offset1:102
	ds_load_2addr_b64 v[32:35], v50 offset0:76 offset1:178
	v_and_b32_e32 v44, 0xffff, v36
	s_wait_loadcnt_dscnt 0x300
	v_dual_mul_f32 v54, v33, v27 :: v_dual_add_nc_u32 v51, 0x1000, v89
	ds_load_2addr_b64 v[36:39], v48 offset0:152 offset1:254
	ds_load_2addr_b64 v[40:43], v51 offset0:100 offset1:202
	s_wait_loadcnt 0x2
	v_mul_f32_e32 v57, v34, v21
	v_mul_u32_u24_e32 v52, 0x99, v44
	ds_load_b64 v[44:45], v89 offset:6528
	v_add_nc_u32_e32 v53, 0xc00, v89
	v_dual_mul_f32 v55, v32, v27 :: v_dual_mul_f32 v56, v35, v21
	v_add_lshl_u32 v92, v52, v49, 3
	v_mul_f32_e32 v49, v31, v25
	v_mul_f32_e32 v52, v30, v25
	global_wb scope:SCOPE_SE
	s_wait_loadcnt_dscnt 0x0
	s_barrier_signal -1
	s_barrier_wait -1
	v_fma_f32 v30, v30, v24, -v49
	global_inv scope:SCOPE_SE
	v_fmac_f32_e32 v55, v33, v26
	v_dual_fmac_f32 v57, v35, v20 :: v_dual_mul_f32 v58, v37, v23
	v_dual_mul_f32 v59, v36, v23 :: v_dual_mul_f32 v60, v39, v17
	v_dual_mul_f32 v61, v38, v17 :: v_dual_mul_f32 v66, v40, v19
	;; [unrolled: 1-line block ×4, first 2 shown]
	v_dual_mul_f32 v65, v41, v19 :: v_dual_fmac_f32 v52, v31, v24
	v_fmac_f32_e32 v59, v37, v22
	v_fma_f32 v31, v32, v26, -v54
	v_fma_f32 v32, v34, v20, -v56
	v_fma_f32 v33, v36, v22, -v58
	v_fma_f32 v34, v38, v16, -v60
	v_dual_fmac_f32 v61, v39, v16 :: v_dual_fmac_f32 v70, v45, v14
	v_fma_f32 v36, v44, v14, -v69
	v_fmac_f32_e32 v68, v43, v12
	v_fma_f32 v35, v40, v18, -v65
	v_fma_f32 v37, v42, v12, -v67
	v_add_f32_e32 v39, v52, v70
	s_delay_alu instid0(VALU_DEP_4)
	v_dual_fmac_f32 v66, v41, v18 :: v_dual_add_f32 v41, v55, v68
	v_add_f32_e32 v38, v30, v36
	v_dual_sub_f32 v36, v30, v36 :: v_dual_sub_f32 v49, v33, v34
	v_add_f32_e32 v40, v31, v37
	v_dual_add_f32 v42, v32, v35 :: v_dual_sub_f32 v37, v31, v37
	v_add_f32_e32 v43, v57, v66
	v_dual_sub_f32 v44, v52, v70 :: v_dual_sub_f32 v45, v55, v68
	v_dual_sub_f32 v32, v32, v35 :: v_dual_add_f32 v55, v59, v61
	v_sub_f32_e32 v52, v59, v61
	v_dual_fmamk_f32 v58, v38, 0x3f441b7d, v28 :: v_dual_add_f32 v69, v49, v36
	v_sub_f32_e32 v35, v57, v66
	v_dual_add_f32 v54, v33, v34 :: v_dual_mul_f32 v65, 0xbf248dbb, v49
	v_mul_f32_e32 v57, 0x3f248dbb, v44
	v_fmamk_f32 v60, v39, 0x3f441b7d, v29
	v_dual_fmamk_f32 v68, v55, 0x3f441b7d, v29 :: v_dual_fmamk_f32 v75, v40, 0x3f441b7d, v28
	s_delay_alu instid0(VALU_DEP_4)
	v_dual_add_f32 v72, v41, v39 :: v_dual_fmac_f32 v65, 0x3f7c1c5c, v36
	v_dual_mul_f32 v74, 0x3f7c1c5c, v52 :: v_dual_sub_f32 v69, v69, v37
	v_dual_mul_f32 v56, 0x3f248dbb, v36 :: v_dual_add_f32 v31, v43, v29
	v_dual_mul_f32 v66, 0xbf248dbb, v52 :: v_dual_add_f32 v71, v40, v38
	v_dual_fmamk_f32 v67, v54, 0x3f441b7d, v28 :: v_dual_add_f32 v70, v52, v44
	v_dual_mul_f32 v73, 0x3f7c1c5c, v49 :: v_dual_add_f32 v30, v42, v28
	v_fmac_f32_e32 v57, 0x3f7c1c5c, v45
	s_delay_alu instid0(VALU_DEP_4) | instskip(NEXT) | instid1(VALU_DEP_4)
	v_dual_fmamk_f32 v76, v41, 0x3f441b7d, v29 :: v_dual_add_f32 v77, v54, v71
	v_dual_fmac_f32 v58, 0x3e31d0d4, v40 :: v_dual_fmac_f32 v67, 0x3e31d0d4, v38
	v_dual_fmac_f32 v60, 0x3e31d0d4, v41 :: v_dual_fmac_f32 v75, 0x3e31d0d4, v54
	v_dual_add_f32 v78, v55, v72 :: v_dual_mul_f32 v79, 0x3f5db3d7, v69
	v_fmac_f32_e32 v68, 0x3e31d0d4, v39
	v_dual_fmac_f32 v56, 0x3f7c1c5c, v37 :: v_dual_add_f32 v71, v42, v71
	v_dual_sub_f32 v70, v70, v45 :: v_dual_fmac_f32 v57, 0x3f5db3d7, v35
	v_fma_f32 v73, 0xbf248dbb, v37, -v73
	v_fma_f32 v74, 0xbf248dbb, v45, -v74
	v_dual_add_f32 v72, v43, v72 :: v_dual_fmac_f32 v75, -0.5, v42
	v_fmac_f32_e32 v76, 0x3e31d0d4, v55
	v_dual_fmac_f32 v58, -0.5, v42 :: v_dual_fmac_f32 v65, 0xbf5db3d7, v32
	v_dual_fmac_f32 v31, -0.5, v78 :: v_dual_fmac_f32 v68, -0.5, v43
	v_fmac_f32_e32 v57, 0x3eaf1d44, v52
	v_dual_fmac_f32 v66, 0x3f7c1c5c, v44 :: v_dual_fmac_f32 v67, -0.5, v42
	v_fmac_f32_e32 v56, 0x3f5db3d7, v32
	v_dual_fmac_f32 v60, -0.5, v43 :: v_dual_fmac_f32 v73, 0x3f5db3d7, v32
	v_dual_add_f32 v32, v33, v71 :: v_dual_fmac_f32 v65, 0x3eaf1d44, v37
	v_dual_add_f32 v33, v59, v72 :: v_dual_fmac_f32 v76, -0.5, v43
	s_delay_alu instid0(VALU_DEP_3) | instskip(SKIP_4) | instid1(VALU_DEP_4)
	v_fmac_f32_e32 v73, 0x3eaf1d44, v36
	v_fmac_f32_e32 v68, 0xbf708fb2, v41
	v_fmac_f32_e32 v74, 0x3f5db3d7, v35
	v_dual_fmac_f32 v66, 0xbf5db3d7, v35 :: v_dual_fmac_f32 v31, 0xbf5db3d7, v69
	v_dual_fmac_f32 v60, 0xbf708fb2, v55 :: v_dual_fmac_f32 v75, 0xbf708fb2, v38
	v_dual_fmac_f32 v76, 0xbf708fb2, v39 :: v_dual_sub_f32 v35, v68, v65
	s_delay_alu instid0(VALU_DEP_4) | instskip(SKIP_2) | instid1(VALU_DEP_4)
	v_fmac_f32_e32 v74, 0x3eaf1d44, v44
	v_dual_fmac_f32 v30, -0.5, v77 :: v_dual_fmac_f32 v67, 0xbf708fb2, v40
	v_fmac_f32_e32 v66, 0x3eaf1d44, v45
	v_dual_fmac_f32 v58, 0xbf708fb2, v54 :: v_dual_sub_f32 v39, v76, v73
	v_add_f32_e32 v41, v61, v33
	v_fmac_f32_e32 v56, 0x3eaf1d44, v49
	v_add_f32_e32 v40, v34, v32
	v_add_f32_e32 v38, v74, v75
	v_mul_f32_e32 v80, 0x3f5db3d7, v70
	v_dual_fmac_f32 v30, 0x3f5db3d7, v70 :: v_dual_add_f32 v29, v41, v29
	v_add_f32_e32 v34, v66, v67
	v_dual_add_f32 v32, v57, v58 :: v_dual_sub_f32 v33, v60, v56
	v_add_f32_e32 v28, v40, v28
	v_fma_f32 v42, -2.0, v74, v38
	v_fma_f32 v43, 2.0, v73, v39
	v_fma_f32 v36, -2.0, v80, v30
	v_fma_f32 v37, 2.0, v79, v31
	;; [unrolled: 2-line block ×4, first 2 shown]
	ds_store_2addr_b64 v92, v[28:29], v[32:33] offset1:17
	ds_store_2addr_b64 v92, v[34:35], v[30:31] offset0:34 offset1:51
	ds_store_2addr_b64 v92, v[38:39], v[42:43] offset0:68 offset1:85
	;; [unrolled: 1-line block ×3, first 2 shown]
	ds_store_b64 v92, v[44:45] offset:1088
	global_wb scope:SCOPE_SE
	s_wait_dscnt 0x0
	s_barrier_signal -1
	s_barrier_wait -1
	global_inv scope:SCOPE_SE
	ds_load_2addr_b64 v[28:31], v89 offset1:102
	ds_load_2addr_b64 v[40:43], v53 offset0:75 offset1:177
	ds_load_2addr_b64 v[32:35], v50 offset0:76 offset1:178
	;; [unrolled: 1-line block ×3, first 2 shown]
	s_and_saveexec_b32 s1, s0
	s_cbranch_execz .LBB0_9
; %bb.8:
	ds_load_b64 v[44:45], v89 offset:3264
	ds_load_b64 v[46:47], v89 offset:6936
.LBB0_9:
	s_wait_alu 0xfffe
	s_or_b32 exec_lo, exec_lo, s1
	s_clause 0x1
	global_load_b64 v[71:72], v89, s[2:3] offset:1088
	global_load_b64 v[67:68], v89, s[2:3] offset:1496
	v_add_nc_u32_e32 v54, 0x132, v90
	v_add_co_u32 v49, s1, 0x66, v90
	s_wait_alu 0xf1ff
	v_add_co_ci_u32_e64 v50, null, 0, 0, s1
	v_add_co_u32 v51, s1, 0xffffffcd, v90
	v_add_nc_u32_e32 v55, 0x198, v90
	s_wait_alu 0xf1ff
	v_add_co_ci_u32_e64 v52, null, 0, -1, s1
	v_and_b32_e32 v56, 0xffff, v54
	s_delay_alu instid0(VALU_DEP_3) | instskip(NEXT) | instid1(VALU_DEP_3)
	v_and_b32_e32 v57, 0xffff, v55
	v_cndmask_b32_e64 v53, v52, v50, s0
	v_cndmask_b32_e64 v52, v51, v49, s0
	s_delay_alu instid0(VALU_DEP_4) | instskip(NEXT) | instid1(VALU_DEP_4)
	v_mul_u32_u24_e32 v50, 0x358b, v56
	v_mul_u32_u24_e32 v56, 0x358b, v57
	s_delay_alu instid0(VALU_DEP_2) | instskip(NEXT) | instid1(VALU_DEP_4)
	v_lshrrev_b32_e32 v57, 21, v50
	v_lshlrev_b64_e32 v[50:51], 3, v[52:53]
	s_delay_alu instid0(VALU_DEP_3) | instskip(NEXT) | instid1(VALU_DEP_3)
	v_lshrrev_b32_e32 v56, 21, v56
	v_mul_lo_u16 v53, 0x99, v57
	s_delay_alu instid0(VALU_DEP_3) | instskip(SKIP_1) | instid1(VALU_DEP_4)
	v_add_co_u32 v50, s1, s2, v50
	s_wait_alu 0xf1ff
	v_add_co_ci_u32_e64 v51, s1, s3, v51, s1
	s_delay_alu instid0(VALU_DEP_3)
	v_sub_nc_u16 v53, v54, v53
	v_cmp_lt_u16_e64 s1, 50, v90
	v_mul_lo_u16 v56, 0x99, v56
	global_load_b64 v[73:74], v[50:51], off offset:1088
	v_and_b32_e32 v51, 0xffff, v53
	s_wait_alu 0xf1ff
	v_cndmask_b32_e64 v53, 0, 0x132, s1
	s_delay_alu instid0(VALU_DEP_1)
	v_add_lshl_u32 v95, v52, v53, 3
	s_wait_loadcnt_dscnt 0x202
	v_mul_f32_e32 v52, v41, v72
	v_sub_nc_u16 v55, v55, v56
	v_mul_f32_e32 v53, v40, v72
	s_wait_loadcnt_dscnt 0x100
	v_mul_f32_e32 v54, v37, v68
	v_fma_f32 v40, v40, v71, -v52
	s_delay_alu instid0(VALU_DEP_3) | instskip(NEXT) | instid1(VALU_DEP_3)
	v_fmac_f32_e32 v53, v41, v71
	v_fma_f32 v41, v36, v67, -v54
	s_wait_loadcnt 0x0
	v_mul_f32_e32 v52, v43, v74
	v_dual_mul_f32 v55, v36, v68 :: v_dual_and_b32 v50, 0xffff, v55
	v_sub_f32_e32 v36, v28, v40
	v_lshlrev_b32_e32 v94, 3, v51
	s_delay_alu instid0(VALU_DEP_3)
	v_dual_sub_f32 v40, v32, v41 :: v_dual_fmac_f32 v55, v37, v67
	v_sub_f32_e32 v37, v29, v53
	v_lshlrev_b32_e32 v93, 3, v50
	v_mul_f32_e32 v53, v42, v74
	s_clause 0x1
	global_load_b64 v[65:66], v93, s[2:3] offset:1088
	global_load_b64 v[69:70], v94, s[2:3] offset:1088
	v_fma_f32 v42, v42, v73, -v52
	v_fmac_f32_e32 v53, v43, v73
	v_add_co_u32 v50, s1, s2, v89
	s_wait_alu 0xf1ff
	v_add_co_ci_u32_e64 v51, null, s3, 0, s1
	v_dual_sub_f32 v42, v30, v42 :: v_dual_sub_f32 v41, v33, v55
	v_fma_f32 v28, v28, 2.0, -v36
	v_fma_f32 v29, v29, 2.0, -v37
	;; [unrolled: 1-line block ×3, first 2 shown]
	s_delay_alu instid0(VALU_DEP_4)
	v_fma_f32 v30, v30, 2.0, -v42
	global_wb scope:SCOPE_SE
	s_wait_loadcnt 0x0
	s_barrier_signal -1
	s_barrier_wait -1
	global_inv scope:SCOPE_SE
	v_mul_f32_e32 v52, v39, v70
	v_mul_f32_e32 v54, v38, v70
	;; [unrolled: 1-line block ×3, first 2 shown]
	v_fma_f32 v33, v33, 2.0, -v41
	s_delay_alu instid0(VALU_DEP_4) | instskip(NEXT) | instid1(VALU_DEP_4)
	v_fma_f32 v38, v38, v69, -v52
	v_fmac_f32_e32 v54, v39, v69
	v_sub_f32_e32 v43, v31, v53
	v_mul_f32_e32 v53, v47, v66
	v_add_nc_u32_e32 v52, 0x1000, v94
	v_sub_f32_e32 v38, v34, v38
	v_sub_f32_e32 v39, v35, v54
	v_fma_f32 v31, v31, 2.0, -v43
	v_fma_f32 v46, v46, v65, -v53
	v_fmac_f32_e32 v55, v47, v65
	v_fma_f32 v34, v34, 2.0, -v38
	v_fma_f32 v35, v35, 2.0, -v39
	ds_store_2addr_b64 v89, v[28:29], v[36:37] offset1:153
	ds_store_2addr_b64 v95, v[30:31], v[42:43] offset1:153
	ds_store_2addr_b64 v48, v[32:33], v[40:41] offset0:101 offset1:254
	ds_store_2addr_b64 v52, v[34:35], v[38:39] offset0:100 offset1:253
	v_dual_sub_f32 v46, v44, v46 :: v_dual_sub_f32 v47, v45, v55
	s_and_saveexec_b32 s1, s0
	s_cbranch_execz .LBB0_11
; %bb.10:
	s_delay_alu instid0(VALU_DEP_1) | instskip(NEXT) | instid1(VALU_DEP_2)
	v_fma_f32 v29, v45, 2.0, -v47
	v_fma_f32 v28, v44, 2.0, -v46
	v_add_nc_u32_e32 v30, 0x1000, v93
	ds_store_2addr_b64 v30, v[28:29], v[46:47] offset0:100 offset1:253
.LBB0_11:
	s_wait_alu 0xfffe
	s_or_b32 exec_lo, exec_lo, s1
	v_add_co_u32 v28, s1, v50, v89
	s_wait_alu 0xf1ff
	v_add_co_ci_u32_e64 v29, s1, 0, v51, s1
	global_wb scope:SCOPE_SE
	s_wait_dscnt 0x0
	s_barrier_signal -1
	s_barrier_wait -1
	global_inv scope:SCOPE_SE
	global_load_b128 v[28:31], v[28:29], off offset:2312
	v_lshlrev_b32_e32 v32, 4, v49
	v_lshl_add_u32 v33, v90, 4, 0xcc0
	v_add_nc_u32_e32 v75, 0x400, v89
	s_clause 0x1
	global_load_b128 v[36:39], v32, s[2:3] offset:2312
	global_load_b128 v[32:35], v33, s[2:3] offset:2312
	v_add_nc_u32_e32 v44, 0x1000, v89
	v_add_nc_u32_e32 v45, 0x800, v89
	ds_load_2addr_b64 v[52:55], v75 offset0:76 offset1:178
	ds_load_2addr_b64 v[40:43], v44 offset0:100 offset1:202
	;; [unrolled: 1-line block ×3, first 2 shown]
	ds_load_b64 v[60:61], v89 offset:6528
	ds_load_2addr_b64 v[48:51], v89 offset1:102
	s_wait_loadcnt_dscnt 0x204
	v_mul_f32_e32 v76, v55, v29
	s_wait_dscnt 0x3
	v_dual_mul_f32 v77, v54, v29 :: v_dual_mul_f32 v78, v41, v31
	v_mul_f32_e32 v79, v40, v31
	s_wait_loadcnt 0x1
	v_mul_f32_e32 v83, v42, v39
	s_wait_loadcnt_dscnt 0x1
	v_mul_f32_e32 v86, v61, v35
	v_dual_mul_f32 v80, v57, v37 :: v_dual_fmac_f32 v77, v55, v28
	v_dual_mul_f32 v84, v59, v33 :: v_dual_fmac_f32 v79, v41, v30
	v_dual_mul_f32 v82, v43, v39 :: v_dual_mul_f32 v85, v58, v33
	v_mul_f32_e32 v87, v60, v35
	v_fma_f32 v54, v54, v28, -v76
	v_fma_f32 v40, v40, v30, -v78
	v_mul_f32_e32 v81, v56, v37
	v_fma_f32 v41, v56, v36, -v80
	v_fmac_f32_e32 v83, v43, v38
	v_fma_f32 v43, v58, v32, -v84
	v_fma_f32 v42, v42, v38, -v82
	;; [unrolled: 1-line block ×3, first 2 shown]
	v_add_f32_e32 v56, v54, v40
	s_wait_dscnt 0x0
	v_dual_fmac_f32 v81, v57, v36 :: v_dual_add_f32 v76, v50, v41
	v_fmac_f32_e32 v87, v61, v34
	v_sub_f32_e32 v60, v77, v79
	v_add_f32_e32 v84, v52, v43
	s_delay_alu instid0(VALU_DEP_4)
	v_add_f32_e32 v80, v51, v81
	v_dual_fmac_f32 v85, v59, v32 :: v_dual_sub_f32 v78, v81, v83
	v_add_f32_e32 v55, v48, v54
	v_dual_add_f32 v57, v49, v77 :: v_dual_add_f32 v86, v43, v58
	v_dual_sub_f32 v61, v54, v40 :: v_dual_sub_f32 v82, v41, v42
	v_add_f32_e32 v81, v81, v83
	v_sub_f32_e32 v88, v85, v87
	v_dual_add_f32 v59, v77, v79 :: v_dual_add_f32 v40, v55, v40
	v_dual_add_f32 v96, v53, v85 :: v_dual_sub_f32 v97, v43, v58
	v_dual_add_f32 v85, v85, v87 :: v_dual_add_f32 v58, v84, v58
	v_fma_f32 v54, -0.5, v56, v48
	v_add_f32_e32 v77, v41, v42
	v_fma_f32 v55, -0.5, v59, v49
	v_add_f32_e32 v56, v76, v42
	v_fma_f32 v52, -0.5, v86, v52
	v_fmamk_f32 v42, v60, 0x3f5db3d7, v54
	v_fma_f32 v50, -0.5, v77, v50
	v_fmac_f32_e32 v51, -0.5, v81
	v_fmac_f32_e32 v53, -0.5, v85
	v_dual_add_f32 v41, v57, v79 :: v_dual_fmac_f32 v54, 0xbf5db3d7, v60
	s_delay_alu instid0(VALU_DEP_4)
	v_dual_add_f32 v57, v80, v83 :: v_dual_fmamk_f32 v48, v78, 0x3f5db3d7, v50
	v_add_f32_e32 v59, v96, v87
	v_fmamk_f32 v43, v61, 0xbf5db3d7, v55
	v_fmac_f32_e32 v55, 0x3f5db3d7, v61
	v_dual_fmac_f32 v50, 0xbf5db3d7, v78 :: v_dual_fmamk_f32 v49, v82, 0xbf5db3d7, v51
	v_dual_fmac_f32 v51, 0x3f5db3d7, v82 :: v_dual_fmamk_f32 v60, v88, 0x3f5db3d7, v52
	;; [unrolled: 1-line block ×3, first 2 shown]
	v_fmac_f32_e32 v53, 0x3f5db3d7, v97
	ds_store_2addr_b64 v89, v[40:41], v[56:57] offset1:102
	ds_store_2addr_b64 v44, v[54:55], v[50:51] offset0:100 offset1:202
	ds_store_2addr_b64 v75, v[58:59], v[42:43] offset0:76 offset1:178
	;; [unrolled: 1-line block ×3, first 2 shown]
	ds_store_b64 v89, v[52:53] offset:6528
	global_wb scope:SCOPE_SE
	s_wait_dscnt 0x0
	s_barrier_signal -1
	s_barrier_wait -1
	global_inv scope:SCOPE_SE
	s_and_saveexec_b32 s1, vcc_lo
	s_cbranch_execz .LBB0_13
; %bb.12:
	global_load_b64 v[75:76], v89, s[8:9] offset:7344
	s_add_nc_u64 s[2:3], s[8:9], 0x1cb0
	s_clause 0xf
	global_load_b64 v[87:88], v89, s[2:3] offset:432
	global_load_b64 v[116:117], v89, s[2:3] offset:864
	global_load_b64 v[118:119], v89, s[2:3] offset:1296
	global_load_b64 v[120:121], v89, s[2:3] offset:1728
	global_load_b64 v[122:123], v89, s[2:3] offset:2160
	global_load_b64 v[124:125], v89, s[2:3] offset:2592
	global_load_b64 v[126:127], v89, s[2:3] offset:3024
	global_load_b64 v[128:129], v89, s[2:3] offset:3456
	global_load_b64 v[130:131], v89, s[2:3] offset:3888
	global_load_b64 v[132:133], v89, s[2:3] offset:4320
	global_load_b64 v[134:135], v89, s[2:3] offset:4752
	global_load_b64 v[136:137], v89, s[2:3] offset:5184
	global_load_b64 v[138:139], v89, s[2:3] offset:5616
	global_load_b64 v[140:141], v89, s[2:3] offset:6048
	global_load_b64 v[142:143], v89, s[2:3] offset:6480
	global_load_b64 v[144:145], v89, s[2:3] offset:6912
	ds_load_b64 v[77:78], v89
	v_add_nc_u32_e32 v147, 0xc00, v89
	s_wait_loadcnt_dscnt 0x1000
	v_dual_mul_f32 v79, v78, v76 :: v_dual_add_nc_u32 v148, 0x1800, v89
	v_mul_f32_e32 v80, v77, v76
	s_delay_alu instid0(VALU_DEP_2) | instskip(NEXT) | instid1(VALU_DEP_2)
	v_fma_f32 v79, v77, v75, -v79
	v_fmac_f32_e32 v80, v78, v75
	ds_store_b64 v89, v[79:80]
	ds_load_2addr_b64 v[75:78], v89 offset0:54 offset1:108
	ds_load_2addr_b64 v[79:82], v89 offset0:162 offset1:216
	;; [unrolled: 1-line block ×8, first 2 shown]
	s_wait_loadcnt_dscnt 0xf07
	v_mul_f32_e32 v149, v76, v88
	s_wait_loadcnt_dscnt 0xd06
	v_dual_mul_f32 v146, v75, v88 :: v_dual_mul_f32 v151, v80, v119
	v_mul_f32_e32 v150, v78, v117
	s_wait_loadcnt_dscnt 0xb05
	v_dual_mul_f32 v88, v77, v117 :: v_dual_mul_f32 v153, v84, v123
	v_dual_mul_f32 v117, v79, v119 :: v_dual_mul_f32 v152, v82, v121
	v_dual_mul_f32 v119, v81, v121 :: v_dual_fmac_f32 v146, v76, v87
	s_wait_loadcnt 0xa
	v_dual_mul_f32 v121, v83, v123 :: v_dual_mul_f32 v154, v86, v125
	s_wait_loadcnt_dscnt 0x904
	v_mul_f32_e32 v155, v97, v127
	v_dual_mul_f32 v123, v85, v125 :: v_dual_fmac_f32 v88, v78, v116
	s_wait_loadcnt 0x8
	v_dual_mul_f32 v125, v96, v127 :: v_dual_mul_f32 v156, v99, v129
	v_mul_f32_e32 v127, v98, v129
	s_wait_loadcnt_dscnt 0x603
	v_dual_mul_f32 v157, v101, v131 :: v_dual_mul_f32 v158, v103, v133
	s_wait_loadcnt_dscnt 0x402
	v_dual_mul_f32 v129, v100, v131 :: v_dual_mul_f32 v160, v107, v137
	v_mul_f32_e32 v131, v102, v133
	s_wait_loadcnt_dscnt 0x201
	v_dual_mul_f32 v159, v105, v135 :: v_dual_mul_f32 v162, v111, v141
	s_wait_loadcnt_dscnt 0x0
	v_dual_mul_f32 v133, v104, v135 :: v_dual_mul_f32 v164, v115, v145
	v_mul_f32_e32 v135, v106, v137
	v_mul_f32_e32 v161, v109, v139
	;; [unrolled: 1-line block ×7, first 2 shown]
	v_fma_f32 v145, v75, v87, -v149
	v_fma_f32 v87, v77, v116, -v150
	;; [unrolled: 1-line block ×3, first 2 shown]
	v_fmac_f32_e32 v117, v80, v118
	v_fma_f32 v118, v81, v120, -v152
	v_fmac_f32_e32 v119, v82, v120
	v_fma_f32 v120, v83, v122, -v153
	;; [unrolled: 2-line block ×13, first 2 shown]
	v_fmac_f32_e32 v143, v115, v144
	ds_store_2addr_b64 v89, v[145:146], v[87:88] offset0:54 offset1:108
	ds_store_2addr_b64 v89, v[116:117], v[118:119] offset0:162 offset1:216
	;; [unrolled: 1-line block ×8, first 2 shown]
.LBB0_13:
	s_wait_alu 0xfffe
	s_or_b32 exec_lo, exec_lo, s1
	global_wb scope:SCOPE_SE
	s_wait_dscnt 0x0
	s_barrier_signal -1
	s_barrier_wait -1
	global_inv scope:SCOPE_SE
	s_and_saveexec_b32 s1, vcc_lo
	s_cbranch_execz .LBB0_15
; %bb.14:
	v_add_nc_u32_e32 v0, 0x400, v89
	v_add_nc_u32_e32 v1, 0x800, v89
	ds_load_2addr_b64 v[40:43], v89 offset1:54
	ds_load_2addr_b64 v[54:57], v89 offset0:108 offset1:162
	v_add_nc_u32_e32 v2, 0x1000, v89
	ds_load_2addr_b64 v[48:51], v0 offset0:88 offset1:142
	ds_load_2addr_b64 v[44:47], v1 offset0:176 offset1:230
	v_add_nc_u32_e32 v0, 0x1400, v89
	s_wait_dscnt 0x0
	v_mov_b32_e32 v52, v44
	ds_load_2addr_b64 v[58:61], v1 offset0:68 offset1:122
	ds_load_2addr_b64 v[8:11], v2 offset0:28 offset1:82
	;; [unrolled: 1-line block ×3, first 2 shown]
	ds_load_b64 v[63:64], v89 offset:6912
	ds_load_2addr_b64 v[0:3], v0 offset0:116 offset1:170
	v_mov_b32_e32 v53, v45
.LBB0_15:
	s_wait_alu 0xfffe
	s_or_b32 exec_lo, exec_lo, s1
	s_wait_dscnt 0x1
	v_dual_sub_f32 v87, v43, v64 :: v_dual_add_f32 v88, v64, v43
	v_dual_add_f32 v96, v63, v42 :: v_dual_sub_f32 v101, v42, v63
	s_wait_dscnt 0x0
	v_dual_add_f32 v122, v1, v57 :: v_dual_add_f32 v99, v0, v56
	s_delay_alu instid0(VALU_DEP_3) | instskip(SKIP_1) | instid1(VALU_DEP_3)
	v_dual_mul_f32 v75, 0xbe3c28d5, v87 :: v_dual_sub_f32 v98, v54, v2
	v_dual_mul_f32 v80, 0xbf7ba420, v88 :: v_dual_add_f32 v97, v2, v54
	v_dual_mul_f32 v85, 0xbf59a7d5, v122 :: v_dual_sub_f32 v114, v49, v7
	s_delay_alu instid0(VALU_DEP_3) | instskip(SKIP_3) | instid1(VALU_DEP_4)
	v_fma_f32 v44, 0xbf7ba420, v96, -v75
	v_add_f32_e32 v121, v3, v55
	v_add_f32_e32 v123, v7, v49
	v_dual_sub_f32 v116, v59, v11 :: v_dual_sub_f32 v107, v58, v10
	v_dual_add_f32 v44, v40, v44 :: v_dual_sub_f32 v113, v55, v3
	s_delay_alu instid0(VALU_DEP_4) | instskip(SKIP_2) | instid1(VALU_DEP_4)
	v_mul_f32_e32 v82, 0x3f6eb680, v121
	v_sub_f32_e32 v112, v57, v1
	v_sub_f32_e32 v100, v56, v0
	v_dual_add_f32 v136, v11, v59 :: v_dual_mul_f32 v77, 0x3eb8f4ab, v113
	s_delay_alu instid0(VALU_DEP_4) | instskip(SKIP_1) | instid1(VALU_DEP_3)
	v_dual_fmamk_f32 v79, v98, 0x3eb8f4ab, v82 :: v_dual_add_f32 v120, v9, v61
	v_dual_sub_f32 v109, v60, v8 :: v_dual_sub_f32 v118, v53, v47
	v_fma_f32 v78, 0x3f6eb680, v97, -v77
	v_fmamk_f32 v45, v101, 0xbe3c28d5, v80
	v_mul_f32_e32 v76, 0xbf06c442, v112
	v_mul_f32_e32 v127, 0xbe8c1d8e, v120
	s_delay_alu instid0(VALU_DEP_4) | instskip(NEXT) | instid1(VALU_DEP_4)
	v_dual_add_f32 v119, v47, v53 :: v_dual_add_f32 v44, v78, v44
	v_dual_add_f32 v45, v41, v45 :: v_dual_add_f32 v102, v6, v48
	v_mul_f32_e32 v78, 0x3f2c7751, v114
	v_dual_sub_f32 v103, v48, v6 :: v_dual_mul_f32 v86, 0x3f3d2fb0, v123
	s_delay_alu instid0(VALU_DEP_3) | instskip(SKIP_2) | instid1(VALU_DEP_4)
	v_add_f32_e32 v45, v79, v45
	v_fma_f32 v79, 0xbf59a7d5, v99, -v76
	v_fmamk_f32 v81, v100, 0xbf06c442, v85
	v_dual_add_f32 v104, v4, v50 :: v_dual_fmamk_f32 v83, v103, 0x3f2c7751, v86
	v_add_f32_e32 v106, v10, v58
	s_delay_alu instid0(VALU_DEP_3) | instskip(SKIP_2) | instid1(VALU_DEP_3)
	v_dual_add_f32 v44, v79, v44 :: v_dual_add_f32 v45, v81, v45
	v_fma_f32 v81, 0x3f3d2fb0, v102, -v78
	v_dual_sub_f32 v115, v51, v5 :: v_dual_add_f32 v108, v8, v60
	v_dual_fmamk_f32 v130, v109, 0xbf763a35, v127 :: v_dual_add_f32 v45, v83, v45
	s_delay_alu instid0(VALU_DEP_3)
	v_add_f32_e32 v44, v81, v44
	v_mul_f32_e32 v81, 0x3f65296c, v116
	v_dual_add_f32 v125, v5, v51 :: v_dual_mul_f32 v124, 0x3ee437d1, v136
	v_sub_f32_e32 v105, v50, v4
	v_sub_f32_e32 v117, v61, v9
	global_wb scope:SCOPE_SE
	v_mul_f32_e32 v126, 0xbf1a4643, v125
	v_fmamk_f32 v110, v107, 0x3f65296c, v124
	v_mul_f32_e32 v79, 0xbf4c4adb, v115
	v_sub_f32_e32 v111, v52, v46
	s_barrier_signal -1
	v_fmamk_f32 v84, v105, 0xbf4c4adb, v126
	s_barrier_wait -1
	v_fma_f32 v83, 0xbf1a4643, v104, -v79
	global_inv scope:SCOPE_SE
	v_add_f32_e32 v45, v84, v45
	v_mul_f32_e32 v84, 0xbf763a35, v117
	v_add_f32_e32 v44, v83, v44
	v_fma_f32 v83, 0x3ee437d1, v106, -v81
	s_delay_alu instid0(VALU_DEP_4) | instskip(NEXT) | instid1(VALU_DEP_4)
	v_add_f32_e32 v45, v110, v45
	v_fma_f32 v129, 0xbe8c1d8e, v108, -v84
	v_add_f32_e32 v110, v46, v52
	s_delay_alu instid0(VALU_DEP_4) | instskip(NEXT) | instid1(VALU_DEP_4)
	v_dual_add_f32 v44, v83, v44 :: v_dual_mul_f32 v83, 0x3f7ee86f, v118
	v_dual_mul_f32 v128, 0x3dbcf732, v119 :: v_dual_add_f32 v45, v130, v45
	s_delay_alu instid0(VALU_DEP_1) | instskip(NEXT) | instid1(VALU_DEP_3)
	v_fmamk_f32 v130, v111, 0x3f7ee86f, v128
	v_add_f32_e32 v44, v129, v44
	s_delay_alu instid0(VALU_DEP_4) | instskip(NEXT) | instid1(VALU_DEP_1)
	v_fma_f32 v129, 0x3dbcf732, v110, -v83
	v_dual_add_f32 v45, v130, v45 :: v_dual_add_f32 v44, v129, v44
	s_and_saveexec_b32 s1, vcc_lo
	s_cbranch_execz .LBB0_17
; %bb.16:
	v_mul_f32_e32 v132, 0x3eb8f4ab, v98
	v_mul_f32_e32 v129, 0xbe3c28d5, v101
	;; [unrolled: 1-line block ×5, first 2 shown]
	v_dual_sub_f32 v82, v82, v132 :: v_dual_mul_f32 v133, 0xbf59a7d5, v99
	v_sub_f32_e32 v80, v80, v129
	v_mul_f32_e32 v131, 0x3f6eb680, v97
	v_mul_f32_e32 v172, 0xbeb8f4ab, v115
	;; [unrolled: 1-line block ×4, first 2 shown]
	v_dual_add_f32 v80, v41, v80 :: v_dual_mul_f32 v135, 0x3f2c7751, v103
	v_dual_mul_f32 v134, 0x3f3d2fb0, v102 :: v_dual_add_f32 v77, v131, v77
	s_delay_alu instid0(VALU_DEP_2) | instskip(NEXT) | instid1(VALU_DEP_3)
	v_dual_mul_f32 v165, 0xbf06c442, v114 :: v_dual_add_f32 v80, v82, v80
	v_dual_mul_f32 v129, 0xbf06c442, v100 :: v_dual_sub_f32 v86, v86, v135
	v_mul_f32_e32 v130, 0xbf7ba420, v96
	v_mul_f32_e32 v135, 0xbf7ba420, v120
	s_delay_alu instid0(VALU_DEP_3) | instskip(SKIP_1) | instid1(VALU_DEP_4)
	v_dual_mul_f32 v150, 0xbe3c28d5, v115 :: v_dual_sub_f32 v85, v85, v129
	v_mul_f32_e32 v137, 0xbf4c4adb, v105
	v_dual_add_f32 v75, v130, v75 :: v_dual_mul_f32 v132, 0xbf1a4643, v104
	v_add_f32_e32 v76, v133, v76
	s_delay_alu instid0(VALU_DEP_4) | instskip(NEXT) | instid1(VALU_DEP_4)
	v_add_f32_e32 v80, v85, v80
	v_dual_mul_f32 v129, 0xbe8c1d8e, v108 :: v_dual_sub_f32 v126, v126, v137
	v_mul_f32_e32 v139, 0xbf763a35, v109
	s_delay_alu instid0(VALU_DEP_3) | instskip(SKIP_2) | instid1(VALU_DEP_3)
	v_dual_add_f32 v75, v40, v75 :: v_dual_add_f32 v80, v86, v80
	v_mul_f32_e32 v138, 0x3ee437d1, v106
	v_mul_f32_e32 v85, 0x3dbcf732, v110
	v_dual_mul_f32 v130, 0x3f3d2fb0, v136 :: v_dual_add_f32 v75, v77, v75
	s_delay_alu instid0(VALU_DEP_4) | instskip(SKIP_1) | instid1(VALU_DEP_3)
	v_dual_add_f32 v80, v126, v80 :: v_dual_mul_f32 v77, 0x3f7ee86f, v111
	v_mul_f32_e32 v82, 0x3f65296c, v107
	v_dual_mul_f32 v140, 0xbf59a7d5, v88 :: v_dual_add_f32 v75, v76, v75
	v_dual_mul_f32 v131, 0xbf1a4643, v123 :: v_dual_add_f32 v76, v134, v78
	s_delay_alu instid0(VALU_DEP_4) | instskip(NEXT) | instid1(VALU_DEP_4)
	v_sub_f32_e32 v77, v128, v77
	v_sub_f32_e32 v82, v124, v82
	s_delay_alu instid0(VALU_DEP_4)
	v_fmamk_f32 v86, v101, 0x3f06c442, v140
	v_mul_f32_e32 v133, 0xbf7ba420, v136
	v_add_f32_e32 v75, v76, v75
	v_add_f32_e32 v76, v132, v79
	v_mul_f32_e32 v124, 0x3ee437d1, v121
	v_mul_f32_e32 v132, 0x3f6eb680, v125
	;; [unrolled: 1-line block ×3, first 2 shown]
	s_delay_alu instid0(VALU_DEP_4) | instskip(SKIP_3) | instid1(VALU_DEP_3)
	v_dual_mul_f32 v158, 0xbf7ba420, v121 :: v_dual_add_f32 v75, v76, v75
	v_add_f32_e32 v76, v138, v81
	v_add_f32_e32 v78, v41, v86
	v_dual_add_f32 v81, v129, v84 :: v_dual_sub_f32 v86, v127, v139
	v_dual_mul_f32 v138, 0xbe8c1d8e, v121 :: v_dual_add_f32 v75, v76, v75
	v_mul_f32_e32 v126, 0x3dbcf732, v122
	v_add_f32_e32 v80, v82, v80
	v_fmamk_f32 v82, v98, 0xbf65296c, v124
	v_mul_f32_e32 v143, 0x3f65296c, v113
	v_add_f32_e32 v75, v81, v75
	v_fmamk_f32 v79, v100, 0x3f7ee86f, v126
	s_delay_alu instid0(VALU_DEP_4)
	v_dual_fmamk_f32 v81, v101, 0x3f4c4adb, v141 :: v_dual_add_f32 v78, v82, v78
	v_mul_f32_e32 v137, 0xbe8c1d8e, v119
	v_fmamk_f32 v82, v98, 0xbf763a35, v138
	v_mul_f32_e32 v127, 0x3f6eb680, v122
	v_fmamk_f32 v84, v98, 0xbf06c442, v176
	v_add_f32_e32 v78, v79, v78
	v_fmamk_f32 v79, v103, 0xbf4c4adb, v131
	v_dual_add_f32 v81, v41, v81 :: v_dual_mul_f32 v134, 0x3f3d2fb0, v120
	v_mul_f32_e32 v128, 0xbf59a7d5, v123
	v_dual_mul_f32 v189, 0x3dbcf732, v88 :: v_dual_mul_f32 v216, 0x3dbcf732, v121
	s_delay_alu instid0(VALU_DEP_4) | instskip(SKIP_3) | instid1(VALU_DEP_3)
	v_dual_add_f32 v78, v79, v78 :: v_dual_fmamk_f32 v79, v105, 0x3eb8f4ab, v132
	v_add_f32_e32 v80, v86, v80
	v_dual_add_f32 v81, v82, v81 :: v_dual_fmamk_f32 v82, v100, 0x3eb8f4ab, v127
	v_mul_f32_e32 v169, 0x3f6eb680, v123
	v_dual_mul_f32 v157, 0xbeb8f4ab, v117 :: v_dual_add_f32 v76, v77, v80
	v_add_f32_e32 v77, v79, v78
	v_dual_fmamk_f32 v78, v107, 0x3e3c28d5, v133 :: v_dual_add_f32 v79, v85, v83
	v_add_f32_e32 v81, v82, v81
	v_fmamk_f32 v83, v108, 0x3f3d2fb0, v155
	s_delay_alu instid0(VALU_DEP_3) | instskip(SKIP_4) | instid1(VALU_DEP_4)
	v_dual_mul_f32 v144, 0xbf7ee86f, v112 :: v_dual_add_f32 v77, v78, v77
	v_fmamk_f32 v78, v109, 0xbf2c7751, v134
	v_mul_f32_e32 v142, 0xbf06c442, v87
	v_add_f32_e32 v75, v79, v75
	v_mul_f32_e32 v153, 0x3f763a35, v113
	v_dual_fmamk_f32 v82, v103, 0x3f06c442, v128 :: v_dual_add_f32 v77, v78, v77
	s_delay_alu instid0(VALU_DEP_4) | instskip(SKIP_2) | instid1(VALU_DEP_3)
	v_fmamk_f32 v80, v96, 0xbf59a7d5, v142
	v_dual_fmamk_f32 v85, v101, 0x3f7ee86f, v189 :: v_dual_mul_f32 v154, 0x3f7ee86f, v116
	v_mul_f32_e32 v205, 0xbf4c4adb, v113
	v_dual_mul_f32 v152, 0xbf1a4643, v119 :: v_dual_add_f32 v79, v40, v80
	s_delay_alu instid0(VALU_DEP_3) | instskip(SKIP_1) | instid1(VALU_DEP_4)
	v_add_f32_e32 v85, v41, v85
	v_fmamk_f32 v80, v97, 0x3ee437d1, v143
	v_fmamk_f32 v191, v97, 0xbf1a4643, v205
	;; [unrolled: 1-line block ×3, first 2 shown]
	v_mul_f32_e32 v160, 0xbe8c1d8e, v122
	v_mul_f32_e32 v183, 0xbf763a35, v87
	v_add_f32_e32 v78, v80, v79
	v_fmamk_f32 v80, v111, 0x3f763a35, v137
	v_fmamk_f32 v79, v99, 0x3dbcf732, v144
	v_mul_f32_e32 v149, 0xbf4c4adb, v87
	v_mul_f32_e32 v177, 0x3f3d2fb0, v122
	;; [unrolled: 1-line block ×3, first 2 shown]
	v_fmamk_f32 v86, v98, 0x3e3c28d5, v158
	v_dual_add_f32 v78, v79, v78 :: v_dual_fmamk_f32 v79, v102, 0xbf1a4643, v170
	v_mul_f32_e32 v148, 0xbf65296c, v114
	v_mul_f32_e32 v145, 0xbeb8f4ab, v112
	s_delay_alu instid0(VALU_DEP_4) | instskip(NEXT) | instid1(VALU_DEP_4)
	v_dual_add_f32 v85, v86, v85 :: v_dual_fmamk_f32 v86, v100, 0xbf763a35, v160
	v_dual_add_f32 v78, v79, v78 :: v_dual_fmamk_f32 v79, v104, 0x3f6eb680, v172
	v_mul_f32_e32 v175, 0xbe8c1d8e, v88
	v_mul_f32_e32 v139, 0x3ee437d1, v119
	;; [unrolled: 1-line block ×3, first 2 shown]
	v_dual_mul_f32 v171, 0x3ee437d1, v125 :: v_dual_fmamk_f32 v188, v96, 0x3ee437d1, v202
	v_dual_add_f32 v78, v79, v78 :: v_dual_fmamk_f32 v79, v106, 0xbf7ba420, v174
	v_mul_f32_e32 v159, 0x3f65296c, v118
	v_mul_f32_e32 v178, 0x3ee437d1, v123
	;; [unrolled: 1-line block ×3, first 2 shown]
	s_delay_alu instid0(VALU_DEP_4) | instskip(SKIP_3) | instid1(VALU_DEP_4)
	v_dual_mul_f32 v192, 0xbf7ee86f, v87 :: v_dual_add_f32 v79, v79, v78
	v_add_f32_e32 v78, v80, v77
	v_add_f32_e32 v77, v82, v81
	v_fmamk_f32 v81, v110, 0xbe8c1d8e, v146
	v_dual_fmamk_f32 v82, v96, 0xbf1a4643, v149 :: v_dual_add_f32 v79, v83, v79
	v_fmamk_f32 v83, v109, 0x3e3c28d5, v135
	v_mul_f32_e32 v129, 0x3dbcf732, v125
	v_mul_f32_e32 v151, 0x3dbcf732, v136
	;; [unrolled: 1-line block ×5, first 2 shown]
	v_fmamk_f32 v80, v105, 0xbf7ee86f, v129
	v_mul_f32_e32 v181, 0xbf4c4adb, v118
	v_mul_f32_e32 v180, 0xbf1a4643, v120
	;; [unrolled: 1-line block ×4, first 2 shown]
	v_dual_add_f32 v77, v80, v77 :: v_dual_fmamk_f32 v80, v107, 0x3f2c7751, v130
	v_fmamk_f32 v198, v98, 0x3f7ee86f, v216
	v_mul_f32_e32 v217, 0xbf1a4643, v122
	s_delay_alu instid0(VALU_DEP_4) | instskip(SKIP_4) | instid1(VALU_DEP_3)
	v_fmamk_f32 v197, v101, 0x3f2c7751, v215
	v_mul_f32_e32 v211, 0xbf7ee86f, v117
	v_dual_add_f32 v80, v80, v77 :: v_dual_add_f32 v77, v81, v79
	v_add_f32_e32 v79, v40, v82
	v_fmamk_f32 v81, v97, 0xbe8c1d8e, v153
	v_dual_add_f32 v197, v41, v197 :: v_dual_add_f32 v80, v83, v80
	v_fmamk_f32 v83, v101, 0x3f763a35, v175
	v_mul_f32_e32 v184, 0x3f3d2fb0, v119
	s_delay_alu instid0(VALU_DEP_4) | instskip(SKIP_4) | instid1(VALU_DEP_4)
	v_add_f32_e32 v79, v81, v79
	v_fmamk_f32 v81, v99, 0x3f6eb680, v145
	v_mul_f32_e32 v213, 0xbf65296c, v115
	v_add_f32_e32 v83, v41, v83
	v_dual_add_f32 v197, v198, v197 :: v_dual_mul_f32 v220, 0xbf06c442, v118
	v_add_f32_e32 v79, v81, v79
	v_fmamk_f32 v81, v102, 0xbf59a7d5, v165
	s_delay_alu instid0(VALU_DEP_4) | instskip(SKIP_4) | instid1(VALU_DEP_4)
	v_add_f32_e32 v83, v84, v83
	v_fmamk_f32 v84, v100, 0xbf2c7751, v177
	v_fmamk_f32 v82, v111, 0xbf65296c, v139
	;; [unrolled: 1-line block ×3, first 2 shown]
	v_dual_add_f32 v79, v81, v79 :: v_dual_mul_f32 v222, 0xbf7ee86f, v113
	v_dual_add_f32 v83, v84, v83 :: v_dual_fmamk_f32 v84, v103, 0x3f65296c, v178
	s_delay_alu instid0(VALU_DEP_4) | instskip(SKIP_1) | instid1(VALU_DEP_3)
	v_dual_add_f32 v80, v82, v80 :: v_dual_mul_f32 v209, 0x3f2c7751, v115
	v_mul_f32_e32 v221, 0xbf2c7751, v87
	v_dual_add_f32 v85, v86, v85 :: v_dual_add_f32 v82, v84, v83
	v_fmamk_f32 v83, v105, 0x3e3c28d5, v179
	v_mul_f32_e32 v166, 0x3f7ee86f, v115
	v_fmamk_f32 v84, v96, 0xbe8c1d8e, v183
	v_add_f32_e32 v188, v40, v188
	v_fmamk_f32 v86, v103, 0xbeb8f4ab, v169
	v_mul_f32_e32 v219, 0xbf59a7d5, v125
	v_fmamk_f32 v81, v104, 0x3dbcf732, v166
	v_mul_f32_e32 v229, 0xbeb8f4ab, v87
	v_mul_f32_e32 v190, 0x3ee437d1, v88
	v_fmac_f32_e32 v134, 0x3f2c7751, v109
	v_fmac_f32_e32 v130, 0xbf2c7751, v107
	v_add_f32_e32 v79, v81, v79
	v_fmamk_f32 v81, v106, 0x3f3d2fb0, v167
	v_fmac_f32_e32 v141, 0xbf4c4adb, v101
	v_fmac_f32_e32 v127, 0xbeb8f4ab, v100
	;; [unrolled: 1-line block ×4, first 2 shown]
	v_dual_add_f32 v79, v81, v79 :: v_dual_mul_f32 v168, 0xbe3c28d5, v117
	v_fmac_f32_e32 v189, 0xbf7ee86f, v101
	v_mul_f32_e32 v194, 0x3f763a35, v112
	v_mul_f32_e32 v218, 0xbf7ba420, v123
	v_mul_f32_e32 v212, 0x3eb8f4ab, v114
	v_fmamk_f32 v81, v108, 0xbf7ba420, v168
	v_fmamk_f32 v198, v100, 0x3f4c4adb, v217
	;; [unrolled: 1-line block ×3, first 2 shown]
	v_mul_f32_e32 v207, 0x3f4c4adb, v117
	s_delay_alu instid0(VALU_DEP_4)
	v_dual_mul_f32 v214, 0xbf06c442, v116 :: v_dual_add_f32 v79, v81, v79
	v_add_f32_e32 v81, v83, v82
	v_fmamk_f32 v82, v107, 0xbf7ee86f, v151
	v_fmamk_f32 v83, v110, 0x3ee437d1, v159
	v_dual_add_f32 v197, v198, v197 :: v_dual_fmamk_f32 v198, v103, 0x3e3c28d5, v218
	v_mul_f32_e32 v196, 0x3f2c7751, v118
	s_delay_alu instid0(VALU_DEP_3)
	v_dual_mul_f32 v208, 0x3f763a35, v114 :: v_dual_add_f32 v79, v83, v79
	v_dual_add_f32 v83, v40, v84 :: v_dual_fmamk_f32 v84, v97, 0xbf59a7d5, v185
	v_dual_add_f32 v81, v82, v81 :: v_dual_fmamk_f32 v82, v109, 0x3eb8f4ab, v147
	v_mul_f32_e32 v156, 0x3f2c7751, v112
	v_fmamk_f32 v187, v110, 0x3f3d2fb0, v196
	v_mul_f32_e32 v210, 0xbeb8f4ab, v116
	v_mul_f32_e32 v203, 0xbe8c1d8e, v136
	v_dual_add_f32 v81, v82, v81 :: v_dual_add_f32 v82, v84, v83
	v_fmamk_f32 v83, v99, 0x3f3d2fb0, v156
	v_fmamk_f32 v84, v111, 0x3f4c4adb, v152
	v_dual_add_f32 v42, v42, v40 :: v_dual_add_f32 v43, v43, v41
	v_fmac_f32_e32 v140, 0xbf06c442, v101
	s_delay_alu instid0(VALU_DEP_4) | instskip(NEXT) | instid1(VALU_DEP_3)
	v_dual_add_f32 v82, v83, v82 :: v_dual_fmamk_f32 v83, v102, 0x3ee437d1, v148
	v_add_f32_e32 v42, v54, v42
	s_delay_alu instid0(VALU_DEP_4) | instskip(NEXT) | instid1(VALU_DEP_3)
	v_dual_mul_f32 v54, 0xbf65296c, v112 :: v_dual_add_f32 v43, v55, v43
	v_dual_mul_f32 v55, 0xbf59a7d5, v120 :: v_dual_add_f32 v82, v83, v82
	v_fmamk_f32 v83, v104, 0xbf7ba420, v150
	s_delay_alu instid0(VALU_DEP_4) | instskip(NEXT) | instid1(VALU_DEP_4)
	v_add_f32_e32 v42, v56, v42
	v_dual_mul_f32 v56, 0xbf7ee86f, v114 :: v_dual_add_f32 v43, v57, v43
	v_fmac_f32_e32 v124, 0x3f65296c, v98
	s_delay_alu instid0(VALU_DEP_4) | instskip(NEXT) | instid1(VALU_DEP_3)
	v_dual_add_f32 v82, v83, v82 :: v_dual_fmamk_f32 v83, v106, 0x3dbcf732, v154
	v_dual_add_f32 v42, v48, v42 :: v_dual_add_f32 v43, v49, v43
	v_fmamk_f32 v49, v99, 0x3ee437d1, v54
	s_delay_alu instid0(VALU_DEP_3) | instskip(SKIP_3) | instid1(VALU_DEP_4)
	v_dual_fmac_f32 v126, 0xbf7ee86f, v100 :: v_dual_add_f32 v83, v83, v82
	v_add_f32_e32 v82, v84, v81
	v_dual_add_f32 v81, v86, v85 :: v_dual_fmamk_f32 v84, v105, 0x3f65296c, v171
	v_fmamk_f32 v85, v110, 0xbf1a4643, v181
	v_add_f32_e32 v83, v161, v83
	v_dual_fmamk_f32 v161, v109, 0xbf4c4adb, v180 :: v_dual_add_f32 v42, v50, v42
	s_delay_alu instid0(VALU_DEP_4) | instskip(SKIP_2) | instid1(VALU_DEP_4)
	v_dual_add_f32 v81, v84, v81 :: v_dual_fmamk_f32 v84, v107, 0x3f06c442, v173
	v_fmamk_f32 v86, v96, 0x3dbcf732, v192
	v_fmac_f32_e32 v180, 0x3f4c4adb, v109
	v_add_f32_e32 v42, v58, v42
	v_mul_f32_e32 v58, 0xbf4c4adb, v116
	v_dual_add_f32 v84, v84, v81 :: v_dual_add_f32 v81, v85, v83
	v_dual_add_f32 v83, v40, v86 :: v_dual_fmamk_f32 v86, v111, 0xbf2c7751, v184
	s_delay_alu instid0(VALU_DEP_4) | instskip(NEXT) | instid1(VALU_DEP_3)
	v_add_f32_e32 v42, v60, v42
	v_add_f32_e32 v84, v161, v84
	v_fmamk_f32 v161, v101, 0x3f65296c, v190
	v_dual_mul_f32 v60, 0xbf06c442, v117 :: v_dual_add_f32 v43, v51, v43
	s_delay_alu instid0(VALU_DEP_4) | instskip(NEXT) | instid1(VALU_DEP_4)
	v_add_f32_e32 v42, v52, v42
	v_add_f32_e32 v84, v86, v84
	s_delay_alu instid0(VALU_DEP_4) | instskip(SKIP_1) | instid1(VALU_DEP_4)
	v_dual_add_f32 v162, v41, v161 :: v_dual_mul_f32 v161, 0xbf7ba420, v122
	v_mul_f32_e32 v193, 0xbe3c28d5, v113
	v_dual_mul_f32 v113, 0xbf2c7751, v113 :: v_dual_add_f32 v42, v46, v42
	v_mul_f32_e32 v51, 0xbf763a35, v115
	s_delay_alu instid0(VALU_DEP_4) | instskip(NEXT) | instid1(VALU_DEP_4)
	v_fmamk_f32 v164, v100, 0xbe3c28d5, v161
	v_fmamk_f32 v85, v97, 0xbf7ba420, v193
	v_dual_add_f32 v43, v59, v43 :: v_dual_mul_f32 v52, 0xbe3c28d5, v118
	v_add_f32_e32 v8, v8, v42
	v_fmac_f32_e32 v184, 0x3f2c7751, v111
	s_delay_alu instid0(VALU_DEP_4)
	v_add_f32_e32 v83, v85, v83
	v_fmamk_f32 v85, v99, 0xbe8c1d8e, v194
	v_dual_mul_f32 v186, 0xbf1a4643, v121 :: v_dual_add_f32 v43, v61, v43
	v_fmac_f32_e32 v190, 0xbf65296c, v101
	v_fmac_f32_e32 v171, 0xbf65296c, v105
	;; [unrolled: 1-line block ×3, first 2 shown]
	s_delay_alu instid0(VALU_DEP_4) | instskip(SKIP_3) | instid1(VALU_DEP_4)
	v_fmamk_f32 v163, v98, 0x3f4c4adb, v186
	v_fmac_f32_e32 v138, 0x3f763a35, v98
	v_fmac_f32_e32 v131, 0x3f4c4adb, v103
	;; [unrolled: 1-line block ×3, first 2 shown]
	v_dual_fmac_f32 v128, 0xbf06c442, v103 :: v_dual_add_f32 v163, v163, v162
	v_mul_f32_e32 v162, 0xbe8c1d8e, v123
	v_add_f32_e32 v83, v85, v83
	v_fmamk_f32 v85, v102, 0x3f6eb680, v212
	v_fmac_f32_e32 v133, 0xbe3c28d5, v107
	v_add_f32_e32 v164, v164, v163
	v_fmamk_f32 v182, v103, 0xbf763a35, v162
	v_mul_f32_e32 v163, 0x3f3d2fb0, v125
	v_add_f32_e32 v83, v85, v83
	v_fmamk_f32 v85, v104, 0x3ee437d1, v213
	s_delay_alu instid0(VALU_DEP_4) | instskip(NEXT) | instid1(VALU_DEP_4)
	v_dual_mul_f32 v125, 0xbe8c1d8e, v125 :: v_dual_add_f32 v86, v182, v164
	v_fmamk_f32 v182, v105, 0xbf2c7751, v163
	s_delay_alu instid0(VALU_DEP_3) | instskip(SKIP_4) | instid1(VALU_DEP_4)
	v_dual_mul_f32 v164, 0x3f6eb680, v136 :: v_dual_add_f32 v83, v85, v83
	v_fmamk_f32 v85, v106, 0xbf59a7d5, v214
	v_mul_f32_e32 v136, 0xbf1a4643, v136
	v_dual_fmac_f32 v169, 0x3eb8f4ab, v103 :: v_dual_add_f32 v8, v10, v8
	v_mul_f32_e32 v50, 0xbf7ba420, v119
	v_add_f32_e32 v83, v85, v83
	v_fmamk_f32 v85, v108, 0xbf1a4643, v207
	v_fmac_f32_e32 v178, 0xbf65296c, v103
	v_add_f32_e32 v4, v4, v8
	v_fmac_f32_e32 v152, 0xbf4c4adb, v111
	s_delay_alu instid0(VALU_DEP_4) | instskip(SKIP_2) | instid1(VALU_DEP_3)
	v_dual_fmac_f32 v158, 0xbe3c28d5, v98 :: v_dual_add_f32 v83, v85, v83
	v_dual_add_f32 v85, v182, v86 :: v_dual_fmamk_f32 v86, v107, 0x3eb8f4ab, v164
	v_mul_f32_e32 v182, 0x3dbcf732, v120
	v_dual_add_f32 v4, v6, v4 :: v_dual_add_f32 v83, v187, v83
	v_mul_f32_e32 v187, 0xbf59a7d5, v119
	s_delay_alu instid0(VALU_DEP_3) | instskip(NEXT) | instid1(VALU_DEP_3)
	v_dual_add_f32 v85, v86, v85 :: v_dual_fmamk_f32 v86, v109, 0x3f7ee86f, v182
	v_add_f32_e32 v0, v0, v4
	v_fmac_f32_e32 v164, 0xbeb8f4ab, v107
	s_delay_alu instid0(VALU_DEP_3) | instskip(SKIP_3) | instid1(VALU_DEP_2)
	v_dual_fmac_f32 v160, 0x3f763a35, v100 :: v_dual_add_f32 v85, v86, v85
	v_add_f32_e32 v86, v191, v188
	v_fmamk_f32 v188, v99, 0xbf7ba420, v195
	v_dual_fmamk_f32 v191, v111, 0x3f06c442, v187 :: v_dual_add_f32 v0, v2, v0
	v_dual_fmac_f32 v161, 0x3e3c28d5, v100 :: v_dual_add_f32 v86, v188, v86
	v_fmamk_f32 v188, v102, 0xbe8c1d8e, v208
	v_fmac_f32_e32 v147, 0xbeb8f4ab, v109
	s_delay_alu instid0(VALU_DEP_4) | instskip(NEXT) | instid1(VALU_DEP_3)
	v_dual_fmac_f32 v129, 0x3f7ee86f, v105 :: v_dual_add_f32 v0, v63, v0
	v_add_f32_e32 v86, v188, v86
	v_fmamk_f32 v188, v104, 0x3f3d2fb0, v209
	v_fmac_f32_e32 v173, 0xbf06c442, v107
	s_delay_alu instid0(VALU_DEP_2) | instskip(SKIP_1) | instid1(VALU_DEP_1)
	v_dual_fmac_f32 v163, 0x3f2c7751, v105 :: v_dual_add_f32 v86, v188, v86
	v_fmamk_f32 v188, v106, 0x3f6eb680, v210
	v_add_f32_e32 v188, v188, v86
	v_add_f32_e32 v86, v191, v85
	;; [unrolled: 1-line block ×3, first 2 shown]
	v_fmamk_f32 v191, v105, 0xbf06c442, v219
	v_mul_f32_e32 v197, 0x3ee437d1, v120
	s_delay_alu instid0(VALU_DEP_2) | instskip(SKIP_1) | instid1(VALU_DEP_2)
	v_dual_fmamk_f32 v198, v96, 0x3f3d2fb0, v221 :: v_dual_add_f32 v85, v191, v85
	v_fmamk_f32 v191, v107, 0xbf763a35, v203
	v_dual_fmamk_f32 v201, v109, 0xbf65296c, v197 :: v_dual_add_f32 v198, v40, v198
	s_delay_alu instid0(VALU_DEP_2) | instskip(NEXT) | instid1(VALU_DEP_1)
	v_dual_add_f32 v200, v191, v85 :: v_dual_mul_f32 v191, 0xbf4c4adb, v112
	v_add_f32_e32 v223, v201, v200
	v_mul_f32_e32 v200, 0x3f6eb680, v88
	s_delay_alu instid0(VALU_DEP_4) | instskip(SKIP_2) | instid1(VALU_DEP_4)
	v_add_f32_e32 v88, v204, v198
	v_mul_f32_e32 v198, 0xbe3c28d5, v114
	v_mul_f32_e32 v201, 0x3f3d2fb0, v121
	v_fmamk_f32 v204, v101, 0x3eb8f4ab, v200
	v_fmac_f32_e32 v200, 0xbeb8f4ab, v101
	s_delay_alu instid0(VALU_DEP_4) | instskip(NEXT) | instid1(VALU_DEP_4)
	v_fmamk_f32 v121, v102, 0xbf7ba420, v198
	v_fmamk_f32 v224, v98, 0x3f2c7751, v201
	v_fmac_f32_e32 v218, 0xbe3c28d5, v103
	v_add_f32_e32 v206, v41, v204
	v_mul_f32_e32 v204, 0x3ee437d1, v122
	v_mul_f32_e32 v122, 0x3f763a35, v116
	s_delay_alu instid0(VALU_DEP_3)
	v_dual_fmac_f32 v197, 0x3f65296c, v109 :: v_dual_add_f32 v224, v224, v206
	v_mul_f32_e32 v206, 0x3dbcf732, v123
	v_dual_add_f32 v188, v199, v188 :: v_dual_fmamk_f32 v199, v110, 0xbf59a7d5, v220
	v_fmamk_f32 v225, v100, 0x3f65296c, v204
	v_mul_f32_e32 v123, 0x3f65296c, v117
	v_fmac_f32_e32 v204, 0xbf65296c, v100
	s_delay_alu instid0(VALU_DEP_4) | instskip(NEXT) | instid1(VALU_DEP_4)
	v_dual_add_f32 v85, v199, v188 :: v_dual_mul_f32 v188, 0x3f6eb680, v119
	v_dual_fmamk_f32 v199, v99, 0xbf1a4643, v191 :: v_dual_add_f32 v224, v225, v224
	v_fmamk_f32 v225, v103, 0x3f7ee86f, v206
	s_delay_alu instid0(VALU_DEP_3) | instskip(NEXT) | instid1(VALU_DEP_3)
	v_fmamk_f32 v227, v111, 0xbeb8f4ab, v188
	v_dual_add_f32 v88, v199, v88 :: v_dual_mul_f32 v199, 0x3f06c442, v115
	s_delay_alu instid0(VALU_DEP_3) | instskip(SKIP_1) | instid1(VALU_DEP_3)
	v_add_f32_e32 v224, v225, v224
	v_fmamk_f32 v225, v105, 0x3f763a35, v125
	v_dual_fmac_f32 v125, 0xbf763a35, v105 :: v_dual_add_f32 v88, v121, v88
	s_delay_alu instid0(VALU_DEP_4) | instskip(SKIP_1) | instid1(VALU_DEP_4)
	v_fmamk_f32 v121, v104, 0xbf59a7d5, v199
	v_fmac_f32_e32 v206, 0xbf7ee86f, v103
	v_dual_add_f32 v224, v225, v224 :: v_dual_fmamk_f32 v225, v107, 0x3f4c4adb, v136
	v_fmamk_f32 v226, v108, 0x3ee437d1, v123
	s_delay_alu instid0(VALU_DEP_4) | instskip(SKIP_2) | instid1(VALU_DEP_3)
	v_dual_add_f32 v88, v121, v88 :: v_dual_fmamk_f32 v121, v106, 0xbe8c1d8e, v122
	v_fmac_f32_e32 v187, 0xbf06c442, v111
	v_fmac_f32_e32 v162, 0x3f763a35, v103
	v_dual_add_f32 v88, v121, v88 :: v_dual_mul_f32 v121, 0x3eb8f4ab, v118
	s_delay_alu instid0(VALU_DEP_1) | instskip(SKIP_2) | instid1(VALU_DEP_1)
	v_add_f32_e32 v226, v226, v88
	v_dual_add_f32 v88, v227, v223 :: v_dual_add_f32 v223, v225, v224
	v_fmamk_f32 v224, v96, 0x3f6eb680, v229
	v_dual_fmac_f32 v215, 0xbf2c7751, v101 :: v_dual_add_f32 v120, v40, v224
	v_fmamk_f32 v224, v97, 0x3f3d2fb0, v113
	s_delay_alu instid0(VALU_DEP_1) | instskip(NEXT) | instid1(VALU_DEP_1)
	v_dual_fmac_f32 v201, 0xbf2c7751, v98 :: v_dual_add_f32 v112, v224, v120
	v_dual_add_f32 v48, v49, v112 :: v_dual_fmamk_f32 v49, v102, 0x3dbcf732, v56
	s_delay_alu instid0(VALU_DEP_1) | instskip(NEXT) | instid1(VALU_DEP_1)
	v_dual_add_f32 v48, v49, v48 :: v_dual_fmamk_f32 v49, v104, 0xbe8c1d8e, v51
	v_add_f32_e32 v48, v49, v48
	v_add_f32_e32 v49, v53, v43
	v_fmamk_f32 v53, v106, 0xbf1a4643, v58
	s_delay_alu instid0(VALU_DEP_1) | instskip(SKIP_1) | instid1(VALU_DEP_2)
	v_dual_add_f32 v47, v47, v49 :: v_dual_add_f32 v48, v53, v48
	v_fma_f32 v53, 0x3dbcf732, v97, -v222
	v_add_f32_e32 v9, v9, v47
	s_delay_alu instid0(VALU_DEP_1) | instskip(SKIP_1) | instid1(VALU_DEP_2)
	v_add_f32_e32 v9, v11, v9
	v_add_f32_e32 v11, v41, v140
	v_add_f32_e32 v5, v5, v9
	s_delay_alu instid0(VALU_DEP_2) | instskip(SKIP_1) | instid1(VALU_DEP_3)
	v_add_f32_e32 v9, v124, v11
	v_fma_f32 v11, 0x3ee437d1, v97, -v143
	v_add_f32_e32 v5, v7, v5
	s_delay_alu instid0(VALU_DEP_3) | instskip(SKIP_1) | instid1(VALU_DEP_3)
	v_add_f32_e32 v7, v126, v9
	v_fma_f32 v9, 0x3dbcf732, v99, -v144
	v_add_f32_e32 v1, v1, v5
	s_delay_alu instid0(VALU_DEP_3) | instskip(SKIP_2) | instid1(VALU_DEP_4)
	v_add_f32_e32 v5, v131, v7
	v_fma_f32 v7, 0xbf1a4643, v102, -v170
	v_fmamk_f32 v49, v108, 0xbf59a7d5, v60
	v_add_f32_e32 v1, v3, v1
	s_delay_alu instid0(VALU_DEP_4) | instskip(NEXT) | instid1(VALU_DEP_3)
	v_add_f32_e32 v3, v132, v5
	v_dual_fmamk_f32 v47, v110, 0xbf7ba420, v52 :: v_dual_add_f32 v46, v49, v48
	v_fma_f32 v5, 0x3f6eb680, v104, -v172
	v_fma_f32 v48, 0xbf1a4643, v97, -v205
	s_delay_alu instid0(VALU_DEP_4)
	v_add_f32_e32 v2, v133, v3
	v_fma_f32 v52, 0xbf7ba420, v110, -v52
	v_add_f32_e32 v42, v47, v46
	v_fma_f32 v46, 0xbf59a7d5, v96, -v142
	v_fmamk_f32 v57, v109, 0x3f06c442, v55
	v_fmamk_f32 v228, v110, 0x3f6eb680, v121
	v_fmac_f32_e32 v55, 0xbf06c442, v109
	v_fmac_f32_e32 v136, 0xbf4c4adb, v107
	s_delay_alu instid0(VALU_DEP_4) | instskip(NEXT) | instid1(VALU_DEP_4)
	v_dual_add_f32 v10, v40, v46 :: v_dual_add_f32 v57, v57, v223
	v_add_f32_e32 v87, v228, v226
	v_fma_f32 v46, 0xbf59a7d5, v106, -v214
	s_delay_alu instid0(VALU_DEP_3) | instskip(SKIP_3) | instid1(VALU_DEP_4)
	v_add_f32_e32 v8, v11, v10
	v_fmamk_f32 v59, v111, 0x3e3c28d5, v50
	v_fma_f32 v10, 0xbf59a7d5, v97, -v185
	v_fma_f32 v11, 0xbf7ba420, v97, -v193
	v_dual_fmac_f32 v139, 0x3f65296c, v111 :: v_dual_add_f32 v6, v9, v8
	s_delay_alu instid0(VALU_DEP_4) | instskip(SKIP_2) | instid1(VALU_DEP_4)
	v_add_f32_e32 v43, v59, v57
	v_fma_f32 v8, 0xbe8c1d8e, v97, -v153
	v_fmac_f32_e32 v50, 0xbe3c28d5, v111
	v_add_f32_e32 v4, v7, v6
	v_add_f32_e32 v6, v41, v141
	s_delay_alu instid0(VALU_DEP_2) | instskip(SKIP_4) | instid1(VALU_DEP_3)
	v_add_f32_e32 v3, v5, v4
	v_fma_f32 v4, 0xbf7ba420, v106, -v174
	v_add_f32_e32 v2, v134, v2
	v_fma_f32 v5, 0x3f3d2fb0, v108, -v155
	v_add_f32_e32 v6, v138, v6
	v_dual_add_f32 v4, v4, v3 :: v_dual_add_f32 v3, v137, v2
	v_fma_f32 v2, 0xbf1a4643, v96, -v149
	s_delay_alu instid0(VALU_DEP_2) | instskip(SKIP_1) | instid1(VALU_DEP_1)
	v_add_f32_e32 v4, v5, v4
	v_fma_f32 v5, 0xbe8c1d8e, v110, -v146
	v_dual_add_f32 v7, v40, v2 :: v_dual_add_f32 v2, v5, v4
	s_delay_alu instid0(VALU_DEP_1) | instskip(SKIP_2) | instid1(VALU_DEP_3)
	v_dual_add_f32 v4, v127, v6 :: v_dual_add_f32 v5, v8, v7
	v_fma_f32 v6, 0x3f6eb680, v99, -v145
	v_fma_f32 v8, 0xbf7ba420, v108, -v168
	v_add_f32_e32 v4, v128, v4
	v_add_f32_e32 v1, v64, v1
	s_delay_alu instid0(VALU_DEP_4) | instskip(SKIP_1) | instid1(VALU_DEP_1)
	v_add_f32_e32 v5, v6, v5
	v_fma_f32 v6, 0xbf59a7d5, v102, -v165
	v_dual_add_f32 v4, v129, v4 :: v_dual_add_f32 v5, v6, v5
	v_fma_f32 v6, 0x3dbcf732, v104, -v166
	s_delay_alu instid0(VALU_DEP_2) | instskip(NEXT) | instid1(VALU_DEP_2)
	v_add_f32_e32 v4, v130, v4
	v_add_f32_e32 v5, v6, v5
	v_fma_f32 v6, 0x3f3d2fb0, v106, -v167
	s_delay_alu instid0(VALU_DEP_3) | instskip(NEXT) | instid1(VALU_DEP_2)
	v_add_f32_e32 v4, v135, v4
	v_add_f32_e32 v6, v6, v5
	v_fmac_f32_e32 v175, 0xbf763a35, v101
	s_delay_alu instid0(VALU_DEP_3) | instskip(SKIP_1) | instid1(VALU_DEP_4)
	v_add_f32_e32 v5, v139, v4
	v_fma_f32 v4, 0xbe8c1d8e, v96, -v183
	v_add_f32_e32 v6, v8, v6
	v_fma_f32 v8, 0x3ee437d1, v110, -v159
	v_add_f32_e32 v7, v41, v175
	s_delay_alu instid0(VALU_DEP_4) | instskip(NEXT) | instid1(VALU_DEP_3)
	v_add_f32_e32 v9, v40, v4
	v_add_f32_e32 v4, v8, v6
	s_delay_alu instid0(VALU_DEP_2) | instskip(SKIP_2) | instid1(VALU_DEP_2)
	v_dual_add_f32 v7, v176, v7 :: v_dual_add_f32 v8, v10, v9
	v_dual_add_f32 v10, v41, v189 :: v_dual_fmac_f32 v177, 0x3f2c7751, v100
	v_fma_f32 v9, 0x3f3d2fb0, v99, -v156
	v_dual_add_f32 v10, v158, v10 :: v_dual_add_f32 v7, v177, v7
	s_delay_alu instid0(VALU_DEP_2) | instskip(SKIP_1) | instid1(VALU_DEP_3)
	v_dual_fmac_f32 v179, 0xbe3c28d5, v105 :: v_dual_add_f32 v8, v9, v8
	v_fma_f32 v9, 0x3ee437d1, v102, -v148
	v_dual_add_f32 v10, v160, v10 :: v_dual_add_f32 v7, v178, v7
	s_delay_alu instid0(VALU_DEP_2) | instskip(NEXT) | instid1(VALU_DEP_2)
	v_dual_fmac_f32 v151, 0x3f7ee86f, v107 :: v_dual_add_f32 v8, v9, v8
	v_add_f32_e32 v10, v169, v10
	v_fma_f32 v9, 0xbf7ba420, v104, -v150
	s_delay_alu instid0(VALU_DEP_4) | instskip(NEXT) | instid1(VALU_DEP_3)
	v_add_f32_e32 v7, v179, v7
	v_add_f32_e32 v10, v171, v10
	s_delay_alu instid0(VALU_DEP_3) | instskip(SKIP_1) | instid1(VALU_DEP_3)
	v_add_f32_e32 v8, v9, v8
	v_fma_f32 v9, 0x3dbcf732, v106, -v154
	v_dual_add_f32 v7, v151, v7 :: v_dual_add_f32 v10, v173, v10
	s_delay_alu instid0(VALU_DEP_2) | instskip(NEXT) | instid1(VALU_DEP_2)
	v_add_f32_e32 v8, v9, v8
	v_add_f32_e32 v6, v147, v7
	v_fma_f32 v9, 0x3f6eb680, v108, -v157
	s_delay_alu instid0(VALU_DEP_1) | instskip(SKIP_2) | instid1(VALU_DEP_2)
	v_dual_add_f32 v7, v152, v6 :: v_dual_add_f32 v8, v9, v8
	v_fma_f32 v6, 0x3dbcf732, v96, -v192
	v_fma_f32 v9, 0xbf1a4643, v110, -v181
	v_add_f32_e32 v6, v40, v6
	s_delay_alu instid0(VALU_DEP_1) | instskip(SKIP_1) | instid1(VALU_DEP_1)
	v_add_f32_e32 v6, v11, v6
	v_fma_f32 v11, 0xbe8c1d8e, v99, -v194
	v_add_f32_e32 v6, v11, v6
	v_fma_f32 v11, 0x3f6eb680, v102, -v212
	s_delay_alu instid0(VALU_DEP_1) | instskip(SKIP_1) | instid1(VALU_DEP_1)
	v_add_f32_e32 v6, v11, v6
	v_fma_f32 v11, 0x3ee437d1, v104, -v213
	v_dual_add_f32 v11, v11, v6 :: v_dual_add_f32 v6, v9, v8
	v_add_f32_e32 v8, v180, v10
	s_delay_alu instid0(VALU_DEP_2) | instskip(SKIP_1) | instid1(VALU_DEP_3)
	v_add_f32_e32 v10, v46, v11
	v_fma_f32 v11, 0xbf1a4643, v108, -v207
	v_add_f32_e32 v9, v184, v8
	v_fma_f32 v8, 0x3ee437d1, v96, -v202
	v_add_f32_e32 v46, v41, v190
	s_delay_alu instid0(VALU_DEP_4) | instskip(SKIP_1) | instid1(VALU_DEP_4)
	v_add_f32_e32 v10, v11, v10
	v_fma_f32 v11, 0x3f3d2fb0, v110, -v196
	v_dual_add_f32 v47, v40, v8 :: v_dual_fmac_f32 v186, 0xbf4c4adb, v98
	s_delay_alu instid0(VALU_DEP_1) | instskip(NEXT) | instid1(VALU_DEP_2)
	v_dual_add_f32 v8, v11, v10 :: v_dual_add_f32 v11, v48, v47
	v_dual_add_f32 v46, v186, v46 :: v_dual_add_f32 v47, v41, v215
	v_fma_f32 v48, 0x3dbcf732, v108, -v211
	v_add_f32_e32 v41, v41, v200
	s_delay_alu instid0(VALU_DEP_3) | instskip(SKIP_1) | instid1(VALU_DEP_3)
	v_add_f32_e32 v10, v161, v46
	v_fma_f32 v46, 0xbf7ba420, v99, -v195
	v_add_f32_e32 v41, v201, v41
	s_delay_alu instid0(VALU_DEP_2) | instskip(SKIP_1) | instid1(VALU_DEP_3)
	v_add_f32_e32 v11, v46, v11
	v_fma_f32 v46, 0xbe8c1d8e, v102, -v208
	v_dual_fmac_f32 v216, 0xbf7ee86f, v98 :: v_dual_add_f32 v41, v204, v41
	s_delay_alu instid0(VALU_DEP_2) | instskip(NEXT) | instid1(VALU_DEP_2)
	v_add_f32_e32 v11, v46, v11
	v_dual_add_f32 v10, v162, v10 :: v_dual_add_f32 v47, v216, v47
	v_fmac_f32_e32 v217, 0xbf4c4adb, v100
	v_fma_f32 v46, 0x3f3d2fb0, v104, -v209
	v_fmac_f32_e32 v182, 0xbf7ee86f, v109
	s_delay_alu instid0(VALU_DEP_4) | instskip(NEXT) | instid1(VALU_DEP_4)
	v_dual_add_f32 v10, v163, v10 :: v_dual_add_f32 v41, v206, v41
	v_add_f32_e32 v47, v217, v47
	s_delay_alu instid0(VALU_DEP_4) | instskip(SKIP_1) | instid1(VALU_DEP_4)
	v_add_f32_e32 v11, v46, v11
	v_fma_f32 v46, 0x3f6eb680, v106, -v210
	v_dual_add_f32 v10, v164, v10 :: v_dual_fmac_f32 v219, 0x3f06c442, v105
	s_delay_alu instid0(VALU_DEP_2) | instskip(NEXT) | instid1(VALU_DEP_2)
	v_dual_add_f32 v41, v125, v41 :: v_dual_add_f32 v46, v46, v11
	v_add_f32_e32 v10, v182, v10
	v_add_f32_e32 v47, v218, v47
	s_delay_alu instid0(VALU_DEP_3) | instskip(NEXT) | instid1(VALU_DEP_4)
	v_add_f32_e32 v41, v136, v41
	v_add_f32_e32 v46, v48, v46
	s_delay_alu instid0(VALU_DEP_4) | instskip(SKIP_2) | instid1(VALU_DEP_2)
	v_add_f32_e32 v11, v187, v10
	v_fma_f32 v10, 0x3f3d2fb0, v96, -v221
	v_fma_f32 v48, 0xbf59a7d5, v110, -v220
	v_add_f32_e32 v49, v40, v10
	s_delay_alu instid0(VALU_DEP_2) | instskip(NEXT) | instid1(VALU_DEP_2)
	v_dual_add_f32 v47, v219, v47 :: v_dual_add_f32 v10, v48, v46
	v_add_f32_e32 v48, v53, v49
	v_fma_f32 v49, 0xbf1a4643, v99, -v191
	v_fmac_f32_e32 v203, 0x3f763a35, v107
	v_dual_add_f32 v53, v55, v41 :: v_dual_fmac_f32 v188, 0x3eb8f4ab, v111
	s_delay_alu instid0(VALU_DEP_2) | instskip(SKIP_1) | instid1(VALU_DEP_2)
	v_dual_add_f32 v48, v49, v48 :: v_dual_add_f32 v47, v203, v47
	v_fma_f32 v49, 0xbf7ba420, v102, -v198
	v_add_f32_e32 v46, v197, v47
	v_fma_f32 v47, 0x3f6eb680, v96, -v229
	s_delay_alu instid0(VALU_DEP_3) | instskip(SKIP_1) | instid1(VALU_DEP_4)
	v_add_f32_e32 v48, v49, v48
	v_fma_f32 v49, 0xbf59a7d5, v104, -v199
	v_add_f32_e32 v41, v188, v46
	s_delay_alu instid0(VALU_DEP_4) | instskip(SKIP_1) | instid1(VALU_DEP_4)
	v_add_f32_e32 v40, v40, v47
	v_fma_f32 v47, 0x3f3d2fb0, v97, -v113
	v_add_f32_e32 v48, v49, v48
	v_fma_f32 v49, 0xbe8c1d8e, v106, -v122
	s_delay_alu instid0(VALU_DEP_3) | instskip(SKIP_1) | instid1(VALU_DEP_3)
	v_add_f32_e32 v40, v47, v40
	v_fma_f32 v47, 0x3ee437d1, v99, -v54
	v_add_f32_e32 v48, v49, v48
	v_fma_f32 v49, 0x3ee437d1, v108, -v123
	s_delay_alu instid0(VALU_DEP_3) | instskip(SKIP_1) | instid1(VALU_DEP_1)
	v_add_f32_e32 v40, v47, v40
	v_fma_f32 v47, 0x3dbcf732, v102, -v56
	v_add_f32_e32 v40, v47, v40
	v_fma_f32 v47, 0xbe8c1d8e, v104, -v51
	v_dual_add_f32 v48, v49, v48 :: v_dual_and_b32 v51, 0xffff, v91
	v_fma_f32 v49, 0x3f6eb680, v110, -v121
	s_delay_alu instid0(VALU_DEP_3) | instskip(SKIP_1) | instid1(VALU_DEP_1)
	v_add_f32_e32 v40, v47, v40
	v_fma_f32 v47, 0xbf1a4643, v106, -v58
	v_dual_add_f32 v40, v47, v40 :: v_dual_lshlrev_b32 v51, 3, v51
	v_fma_f32 v47, 0xbf59a7d5, v108, -v60
	s_delay_alu instid0(VALU_DEP_1) | instskip(SKIP_1) | instid1(VALU_DEP_2)
	v_add_f32_e32 v54, v47, v40
	v_dual_add_f32 v40, v49, v48 :: v_dual_add_f32 v47, v50, v53
	v_add_f32_e32 v46, v52, v54
	ds_store_2addr_b64 v51, v[0:1], v[42:43] offset1:1
	ds_store_2addr_b64 v51, v[87:88], v[85:86] offset0:2 offset1:3
	ds_store_2addr_b64 v51, v[83:84], v[81:82] offset0:4 offset1:5
	;; [unrolled: 1-line block ×7, first 2 shown]
	ds_store_b64 v51, v[46:47] offset:128
.LBB0_17:
	s_wait_alu 0xfffe
	s_or_b32 exec_lo, exec_lo, s1
	global_wb scope:SCOPE_SE
	s_wait_dscnt 0x0
	s_barrier_signal -1
	s_barrier_wait -1
	global_inv scope:SCOPE_SE
	ds_load_2addr_b64 v[0:3], v89 offset1:102
	v_add_nc_u32_e32 v43, 0x400, v89
	v_add_nc_u32_e32 v40, 0x800, v89
	;; [unrolled: 1-line block ×3, first 2 shown]
	ds_load_2addr_b64 v[4:7], v43 offset0:76 offset1:178
	s_wait_dscnt 0x1
	v_mul_f32_e32 v51, v25, v3
	v_mul_f32_e32 v25, v25, v2
	ds_load_2addr_b64 v[8:11], v40 offset0:152 offset1:254
	ds_load_2addr_b64 v[46:49], v50 offset0:100 offset1:202
	ds_load_b64 v[41:42], v89 offset:6528
	global_wb scope:SCOPE_SE
	s_wait_dscnt 0x0
	v_fmac_f32_e32 v51, v24, v2
	v_fma_f32 v2, v24, v3, -v25
	v_dual_mul_f32 v24, v27, v4 :: v_dual_mul_f32 v25, v21, v7
	v_mul_f32_e32 v21, v21, v6
	s_barrier_signal -1
	s_barrier_wait -1
	global_inv scope:SCOPE_SE
	v_dual_fmac_f32 v25, v20, v6 :: v_dual_mul_f32 v52, v17, v11
	v_mul_f32_e32 v3, v27, v5
	v_mul_f32_e32 v27, v23, v9
	;; [unrolled: 1-line block ×4, first 2 shown]
	v_dual_mul_f32 v23, v23, v8 :: v_dual_fmac_f32 v52, v16, v10
	v_mul_f32_e32 v10, v13, v48
	v_dual_fmac_f32 v27, v22, v8 :: v_dual_mul_f32 v8, v15, v41
	s_delay_alu instid0(VALU_DEP_4)
	v_fmac_f32_e32 v6, v14, v41
	v_fmac_f32_e32 v3, v26, v4
	v_fma_f32 v4, v26, v5, -v24
	v_fma_f32 v5, v20, v7, -v21
	v_mul_f32_e32 v7, v19, v46
	v_fma_f32 v8, v14, v42, -v8
	v_fma_f32 v20, v22, v9, -v23
	v_mul_f32_e32 v9, v13, v49
	v_fma_f32 v10, v12, v49, -v10
	v_fma_f32 v7, v18, v47, -v7
	v_sub_f32_e32 v14, v2, v8
	v_add_f32_e32 v15, v2, v8
	v_dual_fmac_f32 v9, v12, v48 :: v_dual_sub_f32 v12, v51, v6
	s_delay_alu instid0(VALU_DEP_3) | instskip(SKIP_2) | instid1(VALU_DEP_4)
	v_dual_mul_f32 v53, v19, v47 :: v_dual_mul_f32 v8, 0x3f248dbb, v14
	v_sub_f32_e32 v23, v5, v7
	v_add_f32_e32 v13, v51, v6
	v_dual_sub_f32 v19, v4, v10 :: v_dual_mul_f32 v6, 0x3f248dbb, v12
	s_delay_alu instid0(VALU_DEP_4) | instskip(SKIP_1) | instid1(VALU_DEP_3)
	v_dual_fmac_f32 v53, v18, v46 :: v_dual_sub_f32 v18, v3, v9
	v_fma_f32 v11, v16, v11, -v17
	v_fmac_f32_e32 v8, 0x3f7c1c5c, v19
	v_add_f32_e32 v10, v4, v10
	s_delay_alu instid0(VALU_DEP_4) | instskip(SKIP_4) | instid1(VALU_DEP_4)
	v_sub_f32_e32 v22, v25, v53
	v_fmac_f32_e32 v6, 0x3f7c1c5c, v18
	v_add_f32_e32 v24, v25, v53
	v_dual_add_f32 v21, v3, v9 :: v_dual_fmac_f32 v8, 0x3f5db3d7, v23
	v_fmamk_f32 v2, v13, 0x3f441b7d, v0
	v_dual_fmac_f32 v6, 0x3f5db3d7, v22 :: v_dual_sub_f32 v25, v27, v52
	v_sub_f32_e32 v26, v20, v11
	v_add_f32_e32 v46, v20, v11
	s_delay_alu instid0(VALU_DEP_4) | instskip(SKIP_3) | instid1(VALU_DEP_3)
	v_fmac_f32_e32 v2, 0x3e31d0d4, v21
	v_fmamk_f32 v3, v15, 0x3f441b7d, v1
	v_dual_add_f32 v41, v5, v7 :: v_dual_fmac_f32 v6, 0x3eaf1d44, v25
	v_add_f32_e32 v42, v27, v52
	v_dual_fmac_f32 v2, -0.5, v24 :: v_dual_fmac_f32 v3, 0x3e31d0d4, v10
	v_mul_f32_e32 v7, 0xbf248dbb, v25
	v_fmamk_f32 v5, v46, 0x3f441b7d, v1
	v_fmac_f32_e32 v8, 0x3eaf1d44, v26
	v_add_f32_e32 v47, v26, v14
	v_fmac_f32_e32 v3, -0.5, v41
	v_dual_fmac_f32 v7, 0x3f7c1c5c, v12 :: v_dual_add_f32 v48, v21, v13
	v_fmac_f32_e32 v5, 0x3e31d0d4, v15
	s_delay_alu instid0(VALU_DEP_4) | instskip(NEXT) | instid1(VALU_DEP_3)
	v_dual_fmamk_f32 v4, v42, 0x3f441b7d, v0 :: v_dual_sub_f32 v47, v47, v19
	v_fmac_f32_e32 v7, 0xbf5db3d7, v22
	s_delay_alu instid0(VALU_DEP_4) | instskip(NEXT) | instid1(VALU_DEP_4)
	v_add_f32_e32 v53, v42, v48
	v_fmac_f32_e32 v5, -0.5, v41
	s_delay_alu instid0(VALU_DEP_4) | instskip(SKIP_2) | instid1(VALU_DEP_3)
	v_fmac_f32_e32 v4, 0x3e31d0d4, v13
	v_mul_f32_e32 v9, 0xbf248dbb, v26
	v_mul_f32_e32 v26, 0x3f7c1c5c, v26
	v_dual_fmac_f32 v4, -0.5, v24 :: v_dual_fmac_f32 v3, 0xbf708fb2, v46
	s_delay_alu instid0(VALU_DEP_1) | instskip(SKIP_1) | instid1(VALU_DEP_3)
	v_fmac_f32_e32 v4, 0xbf708fb2, v21
	v_fmamk_f32 v21, v21, 0x3f441b7d, v0
	v_dual_fmac_f32 v2, 0xbf708fb2, v42 :: v_dual_add_f32 v3, v6, v3
	v_fmac_f32_e32 v9, 0x3f7c1c5c, v14
	s_delay_alu instid0(VALU_DEP_2) | instskip(NEXT) | instid1(VALU_DEP_3)
	v_dual_fmac_f32 v21, 0x3e31d0d4, v42 :: v_dual_sub_f32 v2, v2, v8
	v_fma_f32 v17, -2.0, v6, v3
	s_delay_alu instid0(VALU_DEP_2) | instskip(NEXT) | instid1(VALU_DEP_3)
	v_fmac_f32_e32 v21, -0.5, v24
	v_fma_f32 v16, 2.0, v8, v2
	s_delay_alu instid0(VALU_DEP_2) | instskip(SKIP_1) | instid1(VALU_DEP_2)
	v_dual_add_f32 v8, v25, v12 :: v_dual_fmac_f32 v21, 0xbf708fb2, v13
	v_mul_f32_e32 v25, 0x3f7c1c5c, v25
	v_sub_f32_e32 v49, v8, v18
	v_dual_add_f32 v8, v24, v0 :: v_dual_fmac_f32 v7, 0x3eaf1d44, v18
	v_fmac_f32_e32 v9, 0xbf5db3d7, v23
	s_delay_alu instid0(VALU_DEP_4) | instskip(SKIP_1) | instid1(VALU_DEP_4)
	v_fma_f32 v18, 0xbf248dbb, v18, -v25
	v_add_f32_e32 v51, v10, v15
	v_dual_fmamk_f32 v25, v10, 0x3f441b7d, v1 :: v_dual_fmac_f32 v8, -0.5, v53
	s_delay_alu instid0(VALU_DEP_4) | instskip(NEXT) | instid1(VALU_DEP_4)
	v_fmac_f32_e32 v9, 0x3eaf1d44, v19
	v_fmac_f32_e32 v18, 0x3f5db3d7, v22
	v_fmac_f32_e32 v5, 0xbf708fb2, v10
	v_fma_f32 v19, 0xbf248dbb, v19, -v26
	v_dual_fmac_f32 v25, 0x3e31d0d4, v46 :: v_dual_add_f32 v10, v24, v48
	s_delay_alu instid0(VALU_DEP_4) | instskip(NEXT) | instid1(VALU_DEP_4)
	v_fmac_f32_e32 v18, 0x3eaf1d44, v12
	v_dual_add_f32 v12, v41, v51 :: v_dual_add_f32 v5, v7, v5
	s_delay_alu instid0(VALU_DEP_4) | instskip(NEXT) | instid1(VALU_DEP_2)
	v_dual_sub_f32 v4, v4, v9 :: v_dual_fmac_f32 v19, 0x3f5db3d7, v23
	v_dual_fmac_f32 v25, -0.5, v41 :: v_dual_add_f32 v12, v20, v12
	v_fmac_f32_e32 v8, 0xbf5db3d7, v47
	s_delay_alu instid0(VALU_DEP_3) | instskip(SKIP_4) | instid1(VALU_DEP_3)
	v_fma_f32 v6, 2.0, v9, v4
	v_add_f32_e32 v9, v41, v1
	v_fmac_f32_e32 v19, 0x3eaf1d44, v14
	v_dual_add_f32 v14, v27, v10 :: v_dual_add_f32 v55, v46, v51
	v_fmac_f32_e32 v25, 0xbf708fb2, v15
	v_dual_add_f32 v15, v11, v12 :: v_dual_sub_f32 v12, v21, v19
	s_delay_alu instid0(VALU_DEP_3) | instskip(NEXT) | instid1(VALU_DEP_3)
	v_dual_add_f32 v14, v52, v14 :: v_dual_fmac_f32 v9, -0.5, v55
	v_add_f32_e32 v13, v18, v25
	v_dual_mul_f32 v54, 0x3f5db3d7, v49 :: v_dual_mul_f32 v53, 0x3f5db3d7, v47
	s_delay_alu instid0(VALU_DEP_3)
	v_dual_add_f32 v0, v14, v0 :: v_dual_fmac_f32 v9, 0x3f5db3d7, v49
	v_add_f32_e32 v1, v15, v1
	v_fma_f32 v14, 2.0, v19, v12
	v_fma_f32 v15, -2.0, v18, v13
	v_fma_f32 v7, -2.0, v7, v5
	v_fma_f32 v10, 2.0, v53, v8
	v_fma_f32 v11, -2.0, v54, v9
	ds_store_2addr_b64 v92, v[0:1], v[2:3] offset1:17
	ds_store_2addr_b64 v92, v[4:5], v[8:9] offset0:34 offset1:51
	ds_store_2addr_b64 v92, v[12:13], v[14:15] offset0:68 offset1:85
	ds_store_2addr_b64 v92, v[10:11], v[6:7] offset0:102 offset1:119
	ds_store_b64 v92, v[16:17] offset:1088
	v_add_nc_u32_e32 v4, 0xc00, v89
	global_wb scope:SCOPE_SE
	s_wait_dscnt 0x0
	s_barrier_signal -1
	s_barrier_wait -1
	global_inv scope:SCOPE_SE
	ds_load_2addr_b64 v[0:3], v89 offset1:102
	ds_load_2addr_b64 v[12:15], v4 offset0:75 offset1:177
	ds_load_2addr_b64 v[4:7], v43 offset0:76 offset1:178
	;; [unrolled: 1-line block ×3, first 2 shown]
	s_and_saveexec_b32 s1, s0
	s_cbranch_execz .LBB0_19
; %bb.18:
	ds_load_b64 v[16:17], v89 offset:3264
	ds_load_b64 v[44:45], v89 offset:6936
.LBB0_19:
	s_wait_alu 0xfffe
	s_or_b32 exec_lo, exec_lo, s1
	s_wait_dscnt 0x2
	v_dual_mul_f32 v18, v72, v13 :: v_dual_mul_f32 v21, v74, v14
	v_dual_mul_f32 v19, v72, v12 :: v_dual_mul_f32 v20, v74, v15
	s_wait_dscnt 0x0
	v_mul_f32_e32 v22, v68, v9
	s_delay_alu instid0(VALU_DEP_3)
	v_fmac_f32_e32 v18, v71, v12
	global_wb scope:SCOPE_SE
	v_fma_f32 v12, v71, v13, -v19
	v_mul_f32_e32 v19, v70, v10
	v_dual_mul_f32 v13, v68, v8 :: v_dual_fmac_f32 v20, v73, v14
	v_fma_f32 v14, v73, v15, -v21
	v_dual_mul_f32 v15, v70, v11 :: v_dual_fmac_f32 v22, v67, v8
	s_delay_alu instid0(VALU_DEP_3) | instskip(SKIP_1) | instid1(VALU_DEP_3)
	v_fma_f32 v13, v67, v9, -v13
	v_dual_sub_f32 v8, v0, v18 :: v_dual_sub_f32 v9, v1, v12
	v_fmac_f32_e32 v15, v69, v10
	v_fma_f32 v18, v69, v11, -v19
	v_dual_sub_f32 v10, v2, v20 :: v_dual_sub_f32 v11, v3, v14
	v_dual_sub_f32 v12, v4, v22 :: v_dual_sub_f32 v13, v5, v13
	s_delay_alu instid0(VALU_DEP_3)
	v_dual_sub_f32 v14, v6, v15 :: v_dual_sub_f32 v15, v7, v18
	v_fma_f32 v0, v0, 2.0, -v8
	v_fma_f32 v1, v1, 2.0, -v9
	;; [unrolled: 1-line block ×8, first 2 shown]
	v_add_nc_u32_e32 v18, 0x1000, v94
	s_barrier_signal -1
	s_barrier_wait -1
	global_inv scope:SCOPE_SE
	ds_store_2addr_b64 v89, v[0:1], v[8:9] offset1:153
	ds_store_2addr_b64 v95, v[2:3], v[10:11] offset1:153
	ds_store_2addr_b64 v40, v[4:5], v[12:13] offset0:101 offset1:254
	ds_store_2addr_b64 v18, v[6:7], v[14:15] offset0:100 offset1:253
	s_and_saveexec_b32 s1, s0
	s_cbranch_execz .LBB0_21
; %bb.20:
	v_mul_f32_e32 v0, v66, v44
	v_add_nc_u32_e32 v4, 0x1000, v93
	s_delay_alu instid0(VALU_DEP_2) | instskip(NEXT) | instid1(VALU_DEP_1)
	v_fma_f32 v0, v65, v45, -v0
	v_dual_mul_f32 v2, v66, v45 :: v_dual_sub_f32 v1, v17, v0
	s_delay_alu instid0(VALU_DEP_1) | instskip(NEXT) | instid1(VALU_DEP_2)
	v_fmac_f32_e32 v2, v65, v44
	v_fma_f32 v3, v17, 2.0, -v1
	s_delay_alu instid0(VALU_DEP_2) | instskip(NEXT) | instid1(VALU_DEP_1)
	v_sub_f32_e32 v0, v16, v2
	v_fma_f32 v2, v16, 2.0, -v0
	ds_store_2addr_b64 v4, v[2:3], v[0:1] offset0:100 offset1:253
.LBB0_21:
	s_wait_alu 0xfffe
	s_or_b32 exec_lo, exec_lo, s1
	global_wb scope:SCOPE_SE
	s_wait_dscnt 0x0
	s_barrier_signal -1
	s_barrier_wait -1
	global_inv scope:SCOPE_SE
	ds_load_b64 v[18:19], v89 offset:6528
	v_add_nc_u32_e32 v20, 0x400, v89
	v_add_nc_u32_e32 v0, 0x1000, v89
	s_wait_dscnt 0x0
	v_dual_mul_f32 v22, v35, v18 :: v_dual_add_nc_u32 v1, 0x800, v89
	v_mul_f32_e32 v21, v35, v19
	ds_load_2addr_b64 v[2:5], v20 offset0:76 offset1:178
	ds_load_2addr_b64 v[6:9], v0 offset0:100 offset1:202
	;; [unrolled: 1-line block ×3, first 2 shown]
	ds_load_2addr_b64 v[14:17], v89 offset1:102
	v_fma_f32 v19, v34, v19, -v22
	s_wait_dscnt 0x2
	v_dual_mul_f32 v23, v29, v5 :: v_dual_mul_f32 v26, v31, v6
	v_dual_mul_f32 v25, v31, v7 :: v_dual_mul_f32 v24, v29, v4
	v_mul_f32_e32 v31, v39, v9
	s_delay_alu instid0(VALU_DEP_3) | instskip(NEXT) | instid1(VALU_DEP_3)
	v_fma_f32 v7, v30, v7, -v26
	v_fmac_f32_e32 v25, v30, v6
	v_fmac_f32_e32 v23, v28, v4
	s_wait_dscnt 0x1
	v_mul_f32_e32 v29, v37, v10
	v_fma_f32 v5, v28, v5, -v24
	s_wait_dscnt 0x0
	v_dual_mul_f32 v35, v39, v8 :: v_dual_add_f32 v6, v14, v23
	s_delay_alu instid0(VALU_DEP_1)
	v_dual_add_f32 v6, v6, v25 :: v_dual_mul_f32 v27, v37, v11
	v_dual_add_f32 v4, v23, v25 :: v_dual_fmac_f32 v21, v34, v18
	v_fma_f32 v11, v36, v11, -v29
	v_dual_fmac_f32 v31, v38, v8 :: v_dual_add_f32 v8, v5, v7
	v_fma_f32 v18, v38, v9, -v35
	v_sub_f32_e32 v9, v5, v7
	v_fma_f32 v4, -0.5, v4, v14
	v_fmac_f32_e32 v27, v36, v10
	v_mul_f32_e32 v37, v33, v13
	v_dual_mul_f32 v33, v33, v12 :: v_dual_add_f32 v10, v15, v5
	v_fma_f32 v5, -0.5, v8, v15
	v_fmamk_f32 v8, v9, 0xbf5db3d7, v4
	v_fmac_f32_e32 v4, 0x3f5db3d7, v9
	s_delay_alu instid0(VALU_DEP_4) | instskip(SKIP_4) | instid1(VALU_DEP_3)
	v_fma_f32 v22, v32, v13, -v33
	v_add_f32_e32 v7, v10, v7
	v_dual_add_f32 v10, v27, v31 :: v_dual_fmac_f32 v37, v32, v12
	v_sub_f32_e32 v14, v11, v18
	v_dual_sub_f32 v12, v23, v25 :: v_dual_add_f32 v13, v16, v27
	v_fma_f32 v16, -0.5, v10, v16
	s_delay_alu instid0(VALU_DEP_4) | instskip(NEXT) | instid1(VALU_DEP_3)
	v_dual_sub_f32 v23, v22, v19 :: v_dual_sub_f32 v24, v37, v21
	v_fmamk_f32 v9, v12, 0x3f5db3d7, v5
	v_dual_fmac_f32 v5, 0xbf5db3d7, v12 :: v_dual_add_f32 v12, v11, v18
	v_add_f32_e32 v11, v17, v11
	v_sub_f32_e32 v15, v27, v31
	s_delay_alu instid0(VALU_DEP_3) | instskip(SKIP_2) | instid1(VALU_DEP_3)
	v_dual_fmac_f32 v17, -0.5, v12 :: v_dual_fmamk_f32 v12, v14, 0xbf5db3d7, v16
	v_fmac_f32_e32 v16, 0x3f5db3d7, v14
	v_add_f32_e32 v14, v37, v21
	v_dual_add_f32 v10, v13, v31 :: v_dual_fmamk_f32 v13, v15, 0x3f5db3d7, v17
	v_fmac_f32_e32 v17, 0xbf5db3d7, v15
	v_dual_add_f32 v15, v22, v19 :: v_dual_add_f32 v22, v3, v22
	v_dual_add_f32 v11, v11, v18 :: v_dual_add_f32 v18, v2, v37
	v_fma_f32 v2, -0.5, v14, v2
	s_delay_alu instid0(VALU_DEP_3) | instskip(NEXT) | instid1(VALU_DEP_4)
	v_fmac_f32_e32 v3, -0.5, v15
	v_add_f32_e32 v15, v22, v19
	s_delay_alu instid0(VALU_DEP_4) | instskip(NEXT) | instid1(VALU_DEP_4)
	v_add_f32_e32 v14, v18, v21
	v_fmamk_f32 v18, v23, 0xbf5db3d7, v2
	s_delay_alu instid0(VALU_DEP_4)
	v_dual_fmac_f32 v2, 0x3f5db3d7, v23 :: v_dual_fmamk_f32 v19, v24, 0x3f5db3d7, v3
	v_fmac_f32_e32 v3, 0xbf5db3d7, v24
	ds_store_2addr_b64 v89, v[6:7], v[10:11] offset1:102
	ds_store_2addr_b64 v0, v[4:5], v[16:17] offset0:100 offset1:202
	ds_store_2addr_b64 v20, v[14:15], v[8:9] offset0:76 offset1:178
	;; [unrolled: 1-line block ×3, first 2 shown]
	ds_store_b64 v89, v[2:3] offset:6528
	global_wb scope:SCOPE_SE
	s_wait_dscnt 0x0
	s_barrier_signal -1
	s_barrier_wait -1
	global_inv scope:SCOPE_SE
	s_and_b32 exec_lo, exec_lo, vcc_lo
	s_cbranch_execz .LBB0_23
; %bb.22:
	global_load_b64 v[2:3], v89, s[8:9]
	ds_load_b64 v[4:5], v89
	v_mad_co_u64_u32 v[8:9], null, s4, v90, 0
	s_mov_b32 s0, 0x672e4abd
	s_mov_b32 s1, 0x3f51d8f5
	s_mul_u64 s[2:3], s[4:5], 0x1b0
	s_wait_loadcnt_dscnt 0x0
	v_mul_f32_e32 v6, v5, v3
	v_mul_f32_e32 v3, v4, v3
	s_delay_alu instid0(VALU_DEP_2) | instskip(NEXT) | instid1(VALU_DEP_2)
	v_fmac_f32_e32 v6, v4, v2
	v_fma_f32 v4, v2, v5, -v3
	s_delay_alu instid0(VALU_DEP_2) | instskip(NEXT) | instid1(VALU_DEP_2)
	v_cvt_f64_f32_e32 v[2:3], v6
	v_cvt_f64_f32_e32 v[4:5], v4
	v_mad_co_u64_u32 v[6:7], null, s6, v62, 0
	s_wait_alu 0xfffe
	s_delay_alu instid0(VALU_DEP_3) | instskip(NEXT) | instid1(VALU_DEP_3)
	v_mul_f64_e32 v[2:3], s[0:1], v[2:3]
	v_mul_f64_e32 v[4:5], s[0:1], v[4:5]
	s_delay_alu instid0(VALU_DEP_2) | instskip(NEXT) | instid1(VALU_DEP_2)
	v_cvt_f32_f64_e32 v2, v[2:3]
	v_cvt_f32_f64_e32 v3, v[4:5]
	v_dual_mov_b32 v5, v9 :: v_dual_mov_b32 v4, v7
	s_delay_alu instid0(VALU_DEP_1) | instskip(SKIP_1) | instid1(VALU_DEP_2)
	v_mad_co_u64_u32 v[9:10], null, s7, v62, v[4:5]
	v_mad_co_u64_u32 v[4:5], null, s5, v90, v[5:6]
	v_mov_b32_e32 v7, v9
	s_delay_alu instid0(VALU_DEP_2) | instskip(NEXT) | instid1(VALU_DEP_2)
	v_mov_b32_e32 v9, v4
	v_lshlrev_b64_e32 v[4:5], 3, v[6:7]
	s_delay_alu instid0(VALU_DEP_2) | instskip(NEXT) | instid1(VALU_DEP_2)
	v_lshlrev_b64_e32 v[6:7], 3, v[8:9]
	v_add_co_u32 v4, vcc_lo, s12, v4
	s_delay_alu instid0(VALU_DEP_3) | instskip(NEXT) | instid1(VALU_DEP_2)
	v_add_co_ci_u32_e32 v5, vcc_lo, s13, v5, vcc_lo
	v_add_co_u32 v6, vcc_lo, v4, v6
	s_wait_alu 0xfffd
	s_delay_alu instid0(VALU_DEP_2)
	v_add_co_ci_u32_e32 v7, vcc_lo, v5, v7, vcc_lo
	global_store_b64 v[6:7], v[2:3], off
	global_load_b64 v[8:9], v89, s[8:9] offset:432
	ds_load_2addr_b64 v[2:5], v89 offset0:54 offset1:108
	v_add_co_u32 v6, vcc_lo, v6, s2
	s_wait_alu 0xfffd
	v_add_co_ci_u32_e32 v7, vcc_lo, s3, v7, vcc_lo
	s_wait_loadcnt_dscnt 0x0
	v_mul_f32_e32 v10, v3, v9
	v_mul_f32_e32 v9, v2, v9
	s_delay_alu instid0(VALU_DEP_2) | instskip(NEXT) | instid1(VALU_DEP_2)
	v_fmac_f32_e32 v10, v2, v8
	v_fma_f32 v8, v8, v3, -v9
	s_delay_alu instid0(VALU_DEP_2) | instskip(NEXT) | instid1(VALU_DEP_2)
	v_cvt_f64_f32_e32 v[2:3], v10
	v_cvt_f64_f32_e32 v[8:9], v8
	s_delay_alu instid0(VALU_DEP_2) | instskip(NEXT) | instid1(VALU_DEP_2)
	v_mul_f64_e32 v[2:3], s[0:1], v[2:3]
	v_mul_f64_e32 v[8:9], s[0:1], v[8:9]
	s_delay_alu instid0(VALU_DEP_2) | instskip(NEXT) | instid1(VALU_DEP_2)
	v_cvt_f32_f64_e32 v2, v[2:3]
	v_cvt_f32_f64_e32 v3, v[8:9]
	global_store_b64 v[6:7], v[2:3], off
	global_load_b64 v[2:3], v89, s[8:9] offset:864
	v_add_co_u32 v6, vcc_lo, v6, s2
	s_wait_alu 0xfffd
	v_add_co_ci_u32_e32 v7, vcc_lo, s3, v7, vcc_lo
	s_wait_loadcnt 0x0
	v_mul_f32_e32 v8, v5, v3
	v_mul_f32_e32 v3, v4, v3
	s_delay_alu instid0(VALU_DEP_2) | instskip(NEXT) | instid1(VALU_DEP_2)
	v_fmac_f32_e32 v8, v4, v2
	v_fma_f32 v4, v2, v5, -v3
	s_delay_alu instid0(VALU_DEP_2) | instskip(NEXT) | instid1(VALU_DEP_2)
	v_cvt_f64_f32_e32 v[2:3], v8
	v_cvt_f64_f32_e32 v[4:5], v4
	s_delay_alu instid0(VALU_DEP_2) | instskip(NEXT) | instid1(VALU_DEP_2)
	v_mul_f64_e32 v[2:3], s[0:1], v[2:3]
	v_mul_f64_e32 v[4:5], s[0:1], v[4:5]
	s_delay_alu instid0(VALU_DEP_2) | instskip(NEXT) | instid1(VALU_DEP_2)
	v_cvt_f32_f64_e32 v2, v[2:3]
	v_cvt_f32_f64_e32 v3, v[4:5]
	global_store_b64 v[6:7], v[2:3], off
	global_load_b64 v[8:9], v89, s[8:9] offset:1296
	ds_load_2addr_b64 v[2:5], v89 offset0:162 offset1:216
	v_add_co_u32 v6, vcc_lo, v6, s2
	s_wait_alu 0xfffd
	v_add_co_ci_u32_e32 v7, vcc_lo, s3, v7, vcc_lo
	s_wait_loadcnt_dscnt 0x0
	v_mul_f32_e32 v10, v3, v9
	v_mul_f32_e32 v9, v2, v9
	s_delay_alu instid0(VALU_DEP_2) | instskip(NEXT) | instid1(VALU_DEP_2)
	v_fmac_f32_e32 v10, v2, v8
	v_fma_f32 v8, v8, v3, -v9
	s_delay_alu instid0(VALU_DEP_2) | instskip(NEXT) | instid1(VALU_DEP_2)
	v_cvt_f64_f32_e32 v[2:3], v10
	v_cvt_f64_f32_e32 v[8:9], v8
	s_delay_alu instid0(VALU_DEP_2) | instskip(NEXT) | instid1(VALU_DEP_2)
	v_mul_f64_e32 v[2:3], s[0:1], v[2:3]
	v_mul_f64_e32 v[8:9], s[0:1], v[8:9]
	s_delay_alu instid0(VALU_DEP_2) | instskip(NEXT) | instid1(VALU_DEP_2)
	v_cvt_f32_f64_e32 v2, v[2:3]
	v_cvt_f32_f64_e32 v3, v[8:9]
	global_store_b64 v[6:7], v[2:3], off
	global_load_b64 v[2:3], v89, s[8:9] offset:1728
	v_add_co_u32 v6, vcc_lo, v6, s2
	s_wait_alu 0xfffd
	v_add_co_ci_u32_e32 v7, vcc_lo, s3, v7, vcc_lo
	s_wait_loadcnt 0x0
	v_mul_f32_e32 v8, v5, v3
	v_mul_f32_e32 v3, v4, v3
	s_delay_alu instid0(VALU_DEP_2) | instskip(NEXT) | instid1(VALU_DEP_2)
	v_fmac_f32_e32 v8, v4, v2
	v_fma_f32 v4, v2, v5, -v3
	s_delay_alu instid0(VALU_DEP_2) | instskip(NEXT) | instid1(VALU_DEP_2)
	v_cvt_f64_f32_e32 v[2:3], v8
	v_cvt_f64_f32_e32 v[4:5], v4
	s_delay_alu instid0(VALU_DEP_2) | instskip(NEXT) | instid1(VALU_DEP_2)
	v_mul_f64_e32 v[2:3], s[0:1], v[2:3]
	v_mul_f64_e32 v[4:5], s[0:1], v[4:5]
	s_delay_alu instid0(VALU_DEP_2) | instskip(NEXT) | instid1(VALU_DEP_2)
	v_cvt_f32_f64_e32 v2, v[2:3]
	v_cvt_f32_f64_e32 v3, v[4:5]
	global_store_b64 v[6:7], v[2:3], off
	global_load_b64 v[8:9], v89, s[8:9] offset:2160
	ds_load_2addr_b64 v[2:5], v1 offset0:14 offset1:68
	v_add_co_u32 v6, vcc_lo, v6, s2
	s_wait_alu 0xfffd
	v_add_co_ci_u32_e32 v7, vcc_lo, s3, v7, vcc_lo
	s_wait_loadcnt_dscnt 0x0
	v_mul_f32_e32 v10, v3, v9
	v_mul_f32_e32 v9, v2, v9
	s_delay_alu instid0(VALU_DEP_2) | instskip(NEXT) | instid1(VALU_DEP_2)
	v_fmac_f32_e32 v10, v2, v8
	v_fma_f32 v8, v8, v3, -v9
	s_delay_alu instid0(VALU_DEP_2) | instskip(NEXT) | instid1(VALU_DEP_2)
	v_cvt_f64_f32_e32 v[2:3], v10
	v_cvt_f64_f32_e32 v[8:9], v8
	s_delay_alu instid0(VALU_DEP_2) | instskip(NEXT) | instid1(VALU_DEP_2)
	v_mul_f64_e32 v[2:3], s[0:1], v[2:3]
	v_mul_f64_e32 v[8:9], s[0:1], v[8:9]
	s_delay_alu instid0(VALU_DEP_2) | instskip(NEXT) | instid1(VALU_DEP_2)
	v_cvt_f32_f64_e32 v2, v[2:3]
	v_cvt_f32_f64_e32 v3, v[8:9]
	global_store_b64 v[6:7], v[2:3], off
	global_load_b64 v[2:3], v89, s[8:9] offset:2592
	s_wait_loadcnt 0x0
	v_mul_f32_e32 v8, v5, v3
	v_mul_f32_e32 v3, v4, v3
	s_delay_alu instid0(VALU_DEP_2) | instskip(NEXT) | instid1(VALU_DEP_2)
	v_fmac_f32_e32 v8, v4, v2
	v_fma_f32 v4, v2, v5, -v3
	s_delay_alu instid0(VALU_DEP_2) | instskip(NEXT) | instid1(VALU_DEP_2)
	v_cvt_f64_f32_e32 v[2:3], v8
	v_cvt_f64_f32_e32 v[4:5], v4
	s_delay_alu instid0(VALU_DEP_2) | instskip(NEXT) | instid1(VALU_DEP_2)
	v_mul_f64_e32 v[2:3], s[0:1], v[2:3]
	v_mul_f64_e32 v[4:5], s[0:1], v[4:5]
	s_delay_alu instid0(VALU_DEP_2) | instskip(NEXT) | instid1(VALU_DEP_2)
	v_cvt_f32_f64_e32 v2, v[2:3]
	v_cvt_f32_f64_e32 v3, v[4:5]
	v_add_co_u32 v5, vcc_lo, v6, s2
	s_wait_alu 0xfffd
	v_add_co_ci_u32_e32 v6, vcc_lo, s3, v7, vcc_lo
	global_store_b64 v[5:6], v[2:3], off
	global_load_b64 v[7:8], v89, s[8:9] offset:3024
	ds_load_2addr_b64 v[1:4], v1 offset0:122 offset1:176
	v_add_co_u32 v5, vcc_lo, v5, s2
	s_wait_alu 0xfffd
	v_add_co_ci_u32_e32 v6, vcc_lo, s3, v6, vcc_lo
	s_wait_loadcnt_dscnt 0x0
	v_mul_f32_e32 v9, v2, v8
	v_mul_f32_e32 v8, v1, v8
	s_delay_alu instid0(VALU_DEP_2) | instskip(NEXT) | instid1(VALU_DEP_2)
	v_fmac_f32_e32 v9, v1, v7
	v_fma_f32 v7, v7, v2, -v8
	s_delay_alu instid0(VALU_DEP_2) | instskip(NEXT) | instid1(VALU_DEP_2)
	v_cvt_f64_f32_e32 v[1:2], v9
	v_cvt_f64_f32_e32 v[7:8], v7
	s_delay_alu instid0(VALU_DEP_2) | instskip(NEXT) | instid1(VALU_DEP_2)
	v_mul_f64_e32 v[1:2], s[0:1], v[1:2]
	v_mul_f64_e32 v[7:8], s[0:1], v[7:8]
	s_delay_alu instid0(VALU_DEP_2) | instskip(NEXT) | instid1(VALU_DEP_2)
	v_cvt_f32_f64_e32 v1, v[1:2]
	v_cvt_f32_f64_e32 v2, v[7:8]
	global_store_b64 v[5:6], v[1:2], off
	global_load_b64 v[1:2], v89, s[8:9] offset:3456
	v_add_co_u32 v5, vcc_lo, v5, s2
	s_wait_alu 0xfffd
	v_add_co_ci_u32_e32 v6, vcc_lo, s3, v6, vcc_lo
	s_wait_loadcnt 0x0
	v_mul_f32_e32 v7, v4, v2
	v_mul_f32_e32 v2, v3, v2
	s_delay_alu instid0(VALU_DEP_2) | instskip(NEXT) | instid1(VALU_DEP_2)
	v_fmac_f32_e32 v7, v3, v1
	v_fma_f32 v3, v1, v4, -v2
	s_delay_alu instid0(VALU_DEP_2) | instskip(NEXT) | instid1(VALU_DEP_2)
	v_cvt_f64_f32_e32 v[1:2], v7
	v_cvt_f64_f32_e32 v[3:4], v3
	s_delay_alu instid0(VALU_DEP_2) | instskip(NEXT) | instid1(VALU_DEP_2)
	v_mul_f64_e32 v[1:2], s[0:1], v[1:2]
	v_mul_f64_e32 v[3:4], s[0:1], v[3:4]
	s_delay_alu instid0(VALU_DEP_2) | instskip(NEXT) | instid1(VALU_DEP_2)
	v_cvt_f32_f64_e32 v1, v[1:2]
	v_cvt_f32_f64_e32 v2, v[3:4]
	global_store_b64 v[5:6], v[1:2], off
	global_load_b64 v[7:8], v89, s[8:9] offset:3888
	v_add_nc_u32_e32 v1, 0xc00, v89
	v_add_co_u32 v5, vcc_lo, v5, s2
	s_wait_alu 0xfffd
	v_add_co_ci_u32_e32 v6, vcc_lo, s3, v6, vcc_lo
	ds_load_2addr_b64 v[1:4], v1 offset0:102 offset1:156
	s_wait_loadcnt_dscnt 0x0
	v_mul_f32_e32 v9, v2, v8
	v_mul_f32_e32 v8, v1, v8
	s_delay_alu instid0(VALU_DEP_2) | instskip(NEXT) | instid1(VALU_DEP_2)
	v_fmac_f32_e32 v9, v1, v7
	v_fma_f32 v7, v7, v2, -v8
	s_delay_alu instid0(VALU_DEP_2) | instskip(NEXT) | instid1(VALU_DEP_2)
	v_cvt_f64_f32_e32 v[1:2], v9
	v_cvt_f64_f32_e32 v[7:8], v7
	s_delay_alu instid0(VALU_DEP_2) | instskip(NEXT) | instid1(VALU_DEP_2)
	v_mul_f64_e32 v[1:2], s[0:1], v[1:2]
	v_mul_f64_e32 v[7:8], s[0:1], v[7:8]
	s_delay_alu instid0(VALU_DEP_2) | instskip(NEXT) | instid1(VALU_DEP_2)
	v_cvt_f32_f64_e32 v1, v[1:2]
	v_cvt_f32_f64_e32 v2, v[7:8]
	global_store_b64 v[5:6], v[1:2], off
	global_load_b64 v[1:2], v89, s[8:9] offset:4320
	v_add_co_u32 v5, vcc_lo, v5, s2
	s_wait_alu 0xfffd
	v_add_co_ci_u32_e32 v6, vcc_lo, s3, v6, vcc_lo
	s_wait_loadcnt 0x0
	v_mul_f32_e32 v7, v4, v2
	v_mul_f32_e32 v2, v3, v2
	s_delay_alu instid0(VALU_DEP_2) | instskip(NEXT) | instid1(VALU_DEP_2)
	v_fmac_f32_e32 v7, v3, v1
	v_fma_f32 v3, v1, v4, -v2
	s_delay_alu instid0(VALU_DEP_2) | instskip(NEXT) | instid1(VALU_DEP_2)
	v_cvt_f64_f32_e32 v[1:2], v7
	v_cvt_f64_f32_e32 v[3:4], v3
	s_delay_alu instid0(VALU_DEP_2) | instskip(NEXT) | instid1(VALU_DEP_2)
	v_mul_f64_e32 v[1:2], s[0:1], v[1:2]
	v_mul_f64_e32 v[3:4], s[0:1], v[3:4]
	s_delay_alu instid0(VALU_DEP_2) | instskip(NEXT) | instid1(VALU_DEP_2)
	v_cvt_f32_f64_e32 v1, v[1:2]
	v_cvt_f32_f64_e32 v2, v[3:4]
	global_store_b64 v[5:6], v[1:2], off
	global_load_b64 v[7:8], v89, s[8:9] offset:4752
	ds_load_2addr_b64 v[1:4], v0 offset0:82 offset1:136
	v_add_co_u32 v5, vcc_lo, v5, s2
	s_wait_alu 0xfffd
	v_add_co_ci_u32_e32 v6, vcc_lo, s3, v6, vcc_lo
	s_wait_loadcnt_dscnt 0x0
	v_mul_f32_e32 v9, v2, v8
	v_mul_f32_e32 v8, v1, v8
	s_delay_alu instid0(VALU_DEP_2) | instskip(NEXT) | instid1(VALU_DEP_2)
	v_fmac_f32_e32 v9, v1, v7
	v_fma_f32 v7, v7, v2, -v8
	s_delay_alu instid0(VALU_DEP_2) | instskip(NEXT) | instid1(VALU_DEP_2)
	v_cvt_f64_f32_e32 v[1:2], v9
	v_cvt_f64_f32_e32 v[7:8], v7
	s_delay_alu instid0(VALU_DEP_2) | instskip(NEXT) | instid1(VALU_DEP_2)
	v_mul_f64_e32 v[1:2], s[0:1], v[1:2]
	v_mul_f64_e32 v[7:8], s[0:1], v[7:8]
	s_delay_alu instid0(VALU_DEP_2) | instskip(NEXT) | instid1(VALU_DEP_2)
	v_cvt_f32_f64_e32 v1, v[1:2]
	v_cvt_f32_f64_e32 v2, v[7:8]
	global_store_b64 v[5:6], v[1:2], off
	global_load_b64 v[1:2], v89, s[8:9] offset:5184
	s_wait_loadcnt 0x0
	v_mul_f32_e32 v7, v4, v2
	v_mul_f32_e32 v2, v3, v2
	s_delay_alu instid0(VALU_DEP_2) | instskip(NEXT) | instid1(VALU_DEP_2)
	v_fmac_f32_e32 v7, v3, v1
	v_fma_f32 v3, v1, v4, -v2
	s_delay_alu instid0(VALU_DEP_2) | instskip(NEXT) | instid1(VALU_DEP_2)
	v_cvt_f64_f32_e32 v[1:2], v7
	v_cvt_f64_f32_e32 v[3:4], v3
	s_delay_alu instid0(VALU_DEP_2) | instskip(NEXT) | instid1(VALU_DEP_2)
	v_mul_f64_e32 v[1:2], s[0:1], v[1:2]
	v_mul_f64_e32 v[3:4], s[0:1], v[3:4]
	s_delay_alu instid0(VALU_DEP_2) | instskip(NEXT) | instid1(VALU_DEP_2)
	v_cvt_f32_f64_e32 v1, v[1:2]
	v_cvt_f32_f64_e32 v2, v[3:4]
	v_add_co_u32 v4, vcc_lo, v5, s2
	s_wait_alu 0xfffd
	v_add_co_ci_u32_e32 v5, vcc_lo, s3, v6, vcc_lo
	global_store_b64 v[4:5], v[1:2], off
	global_load_b64 v[6:7], v89, s[8:9] offset:5616
	ds_load_2addr_b64 v[0:3], v0 offset0:190 offset1:244
	v_add_co_u32 v4, vcc_lo, v4, s2
	s_wait_alu 0xfffd
	v_add_co_ci_u32_e32 v5, vcc_lo, s3, v5, vcc_lo
	s_wait_loadcnt_dscnt 0x0
	v_mul_f32_e32 v8, v1, v7
	v_mul_f32_e32 v7, v0, v7
	s_delay_alu instid0(VALU_DEP_2) | instskip(NEXT) | instid1(VALU_DEP_2)
	v_fmac_f32_e32 v8, v0, v6
	v_fma_f32 v6, v6, v1, -v7
	s_delay_alu instid0(VALU_DEP_2) | instskip(NEXT) | instid1(VALU_DEP_2)
	v_cvt_f64_f32_e32 v[0:1], v8
	v_cvt_f64_f32_e32 v[6:7], v6
	s_delay_alu instid0(VALU_DEP_2) | instskip(NEXT) | instid1(VALU_DEP_2)
	v_mul_f64_e32 v[0:1], s[0:1], v[0:1]
	v_mul_f64_e32 v[6:7], s[0:1], v[6:7]
	s_delay_alu instid0(VALU_DEP_2) | instskip(NEXT) | instid1(VALU_DEP_2)
	v_cvt_f32_f64_e32 v0, v[0:1]
	v_cvt_f32_f64_e32 v1, v[6:7]
	global_store_b64 v[4:5], v[0:1], off
	global_load_b64 v[0:1], v89, s[8:9] offset:6048
	v_add_co_u32 v4, vcc_lo, v4, s2
	s_wait_alu 0xfffd
	v_add_co_ci_u32_e32 v5, vcc_lo, s3, v5, vcc_lo
	s_wait_loadcnt 0x0
	v_mul_f32_e32 v6, v3, v1
	v_mul_f32_e32 v1, v2, v1
	s_delay_alu instid0(VALU_DEP_2) | instskip(NEXT) | instid1(VALU_DEP_2)
	v_fmac_f32_e32 v6, v2, v0
	v_fma_f32 v2, v0, v3, -v1
	s_delay_alu instid0(VALU_DEP_2) | instskip(NEXT) | instid1(VALU_DEP_2)
	v_cvt_f64_f32_e32 v[0:1], v6
	v_cvt_f64_f32_e32 v[2:3], v2
	s_delay_alu instid0(VALU_DEP_2) | instskip(NEXT) | instid1(VALU_DEP_2)
	v_mul_f64_e32 v[0:1], s[0:1], v[0:1]
	v_mul_f64_e32 v[2:3], s[0:1], v[2:3]
	s_delay_alu instid0(VALU_DEP_2) | instskip(NEXT) | instid1(VALU_DEP_2)
	v_cvt_f32_f64_e32 v0, v[0:1]
	v_cvt_f32_f64_e32 v1, v[2:3]
	global_store_b64 v[4:5], v[0:1], off
	global_load_b64 v[6:7], v89, s[8:9] offset:6480
	v_add_nc_u32_e32 v0, 0x1800, v89
	v_add_co_u32 v4, vcc_lo, v4, s2
	s_wait_alu 0xfffd
	v_add_co_ci_u32_e32 v5, vcc_lo, s3, v5, vcc_lo
	ds_load_2addr_b64 v[0:3], v0 offset0:42 offset1:96
	s_wait_loadcnt_dscnt 0x0
	v_mul_f32_e32 v8, v1, v7
	v_mul_f32_e32 v7, v0, v7
	s_delay_alu instid0(VALU_DEP_2) | instskip(NEXT) | instid1(VALU_DEP_2)
	v_fmac_f32_e32 v8, v0, v6
	v_fma_f32 v6, v6, v1, -v7
	s_delay_alu instid0(VALU_DEP_2) | instskip(NEXT) | instid1(VALU_DEP_2)
	v_cvt_f64_f32_e32 v[0:1], v8
	v_cvt_f64_f32_e32 v[6:7], v6
	s_delay_alu instid0(VALU_DEP_2) | instskip(NEXT) | instid1(VALU_DEP_2)
	v_mul_f64_e32 v[0:1], s[0:1], v[0:1]
	v_mul_f64_e32 v[6:7], s[0:1], v[6:7]
	s_delay_alu instid0(VALU_DEP_2) | instskip(NEXT) | instid1(VALU_DEP_2)
	v_cvt_f32_f64_e32 v0, v[0:1]
	v_cvt_f32_f64_e32 v1, v[6:7]
	global_store_b64 v[4:5], v[0:1], off
	global_load_b64 v[0:1], v89, s[8:9] offset:6912
	s_wait_loadcnt 0x0
	v_mul_f32_e32 v6, v3, v1
	v_mul_f32_e32 v1, v2, v1
	s_delay_alu instid0(VALU_DEP_2) | instskip(NEXT) | instid1(VALU_DEP_2)
	v_fmac_f32_e32 v6, v2, v0
	v_fma_f32 v2, v0, v3, -v1
	s_delay_alu instid0(VALU_DEP_2) | instskip(NEXT) | instid1(VALU_DEP_2)
	v_cvt_f64_f32_e32 v[0:1], v6
	v_cvt_f64_f32_e32 v[2:3], v2
	s_delay_alu instid0(VALU_DEP_2) | instskip(NEXT) | instid1(VALU_DEP_2)
	v_mul_f64_e32 v[0:1], s[0:1], v[0:1]
	v_mul_f64_e32 v[2:3], s[0:1], v[2:3]
	s_delay_alu instid0(VALU_DEP_2) | instskip(NEXT) | instid1(VALU_DEP_2)
	v_cvt_f32_f64_e32 v0, v[0:1]
	v_cvt_f32_f64_e32 v1, v[2:3]
	v_add_co_u32 v2, vcc_lo, v4, s2
	s_wait_alu 0xfffd
	v_add_co_ci_u32_e32 v3, vcc_lo, s3, v5, vcc_lo
	global_store_b64 v[2:3], v[0:1], off
.LBB0_23:
	s_nop 0
	s_sendmsg sendmsg(MSG_DEALLOC_VGPRS)
	s_endpgm
	.section	.rodata,"a",@progbits
	.p2align	6, 0x0
	.amdhsa_kernel bluestein_single_fwd_len918_dim1_sp_op_CI_CI
		.amdhsa_group_segment_fixed_size 7344
		.amdhsa_private_segment_fixed_size 0
		.amdhsa_kernarg_size 104
		.amdhsa_user_sgpr_count 2
		.amdhsa_user_sgpr_dispatch_ptr 0
		.amdhsa_user_sgpr_queue_ptr 0
		.amdhsa_user_sgpr_kernarg_segment_ptr 1
		.amdhsa_user_sgpr_dispatch_id 0
		.amdhsa_user_sgpr_private_segment_size 0
		.amdhsa_wavefront_size32 1
		.amdhsa_uses_dynamic_stack 0
		.amdhsa_enable_private_segment 0
		.amdhsa_system_sgpr_workgroup_id_x 1
		.amdhsa_system_sgpr_workgroup_id_y 0
		.amdhsa_system_sgpr_workgroup_id_z 0
		.amdhsa_system_sgpr_workgroup_info 0
		.amdhsa_system_vgpr_workitem_id 0
		.amdhsa_next_free_vgpr 230
		.amdhsa_next_free_sgpr 14
		.amdhsa_reserve_vcc 1
		.amdhsa_float_round_mode_32 0
		.amdhsa_float_round_mode_16_64 0
		.amdhsa_float_denorm_mode_32 3
		.amdhsa_float_denorm_mode_16_64 3
		.amdhsa_fp16_overflow 0
		.amdhsa_workgroup_processor_mode 1
		.amdhsa_memory_ordered 1
		.amdhsa_forward_progress 0
		.amdhsa_round_robin_scheduling 0
		.amdhsa_exception_fp_ieee_invalid_op 0
		.amdhsa_exception_fp_denorm_src 0
		.amdhsa_exception_fp_ieee_div_zero 0
		.amdhsa_exception_fp_ieee_overflow 0
		.amdhsa_exception_fp_ieee_underflow 0
		.amdhsa_exception_fp_ieee_inexact 0
		.amdhsa_exception_int_div_zero 0
	.end_amdhsa_kernel
	.text
.Lfunc_end0:
	.size	bluestein_single_fwd_len918_dim1_sp_op_CI_CI, .Lfunc_end0-bluestein_single_fwd_len918_dim1_sp_op_CI_CI
                                        ; -- End function
	.section	.AMDGPU.csdata,"",@progbits
; Kernel info:
; codeLenInByte = 20248
; NumSgprs: 16
; NumVgprs: 230
; ScratchSize: 0
; MemoryBound: 0
; FloatMode: 240
; IeeeMode: 1
; LDSByteSize: 7344 bytes/workgroup (compile time only)
; SGPRBlocks: 1
; VGPRBlocks: 28
; NumSGPRsForWavesPerEU: 16
; NumVGPRsForWavesPerEU: 230
; Occupancy: 6
; WaveLimiterHint : 1
; COMPUTE_PGM_RSRC2:SCRATCH_EN: 0
; COMPUTE_PGM_RSRC2:USER_SGPR: 2
; COMPUTE_PGM_RSRC2:TRAP_HANDLER: 0
; COMPUTE_PGM_RSRC2:TGID_X_EN: 1
; COMPUTE_PGM_RSRC2:TGID_Y_EN: 0
; COMPUTE_PGM_RSRC2:TGID_Z_EN: 0
; COMPUTE_PGM_RSRC2:TIDIG_COMP_CNT: 0
	.text
	.p2alignl 7, 3214868480
	.fill 96, 4, 3214868480
	.type	__hip_cuid_68191266de1b0035,@object ; @__hip_cuid_68191266de1b0035
	.section	.bss,"aw",@nobits
	.globl	__hip_cuid_68191266de1b0035
__hip_cuid_68191266de1b0035:
	.byte	0                               ; 0x0
	.size	__hip_cuid_68191266de1b0035, 1

	.ident	"AMD clang version 19.0.0git (https://github.com/RadeonOpenCompute/llvm-project roc-6.4.0 25133 c7fe45cf4b819c5991fe208aaa96edf142730f1d)"
	.section	".note.GNU-stack","",@progbits
	.addrsig
	.addrsig_sym __hip_cuid_68191266de1b0035
	.amdgpu_metadata
---
amdhsa.kernels:
  - .args:
      - .actual_access:  read_only
        .address_space:  global
        .offset:         0
        .size:           8
        .value_kind:     global_buffer
      - .actual_access:  read_only
        .address_space:  global
        .offset:         8
        .size:           8
        .value_kind:     global_buffer
      - .actual_access:  read_only
        .address_space:  global
        .offset:         16
        .size:           8
        .value_kind:     global_buffer
      - .actual_access:  read_only
        .address_space:  global
        .offset:         24
        .size:           8
        .value_kind:     global_buffer
      - .actual_access:  read_only
        .address_space:  global
        .offset:         32
        .size:           8
        .value_kind:     global_buffer
      - .offset:         40
        .size:           8
        .value_kind:     by_value
      - .address_space:  global
        .offset:         48
        .size:           8
        .value_kind:     global_buffer
      - .address_space:  global
        .offset:         56
        .size:           8
        .value_kind:     global_buffer
      - .address_space:  global
        .offset:         64
        .size:           8
        .value_kind:     global_buffer
      - .address_space:  global
        .offset:         72
        .size:           8
        .value_kind:     global_buffer
      - .offset:         80
        .size:           4
        .value_kind:     by_value
      - .address_space:  global
        .offset:         88
        .size:           8
        .value_kind:     global_buffer
      - .address_space:  global
        .offset:         96
        .size:           8
        .value_kind:     global_buffer
    .group_segment_fixed_size: 7344
    .kernarg_segment_align: 8
    .kernarg_segment_size: 104
    .language:       OpenCL C
    .language_version:
      - 2
      - 0
    .max_flat_workgroup_size: 102
    .name:           bluestein_single_fwd_len918_dim1_sp_op_CI_CI
    .private_segment_fixed_size: 0
    .sgpr_count:     16
    .sgpr_spill_count: 0
    .symbol:         bluestein_single_fwd_len918_dim1_sp_op_CI_CI.kd
    .uniform_work_group_size: 1
    .uses_dynamic_stack: false
    .vgpr_count:     230
    .vgpr_spill_count: 0
    .wavefront_size: 32
    .workgroup_processor_mode: 1
amdhsa.target:   amdgcn-amd-amdhsa--gfx1201
amdhsa.version:
  - 1
  - 2
...

	.end_amdgpu_metadata
